;; amdgpu-corpus repo=ROCm/rocSPARSE kind=compiled arch=gfx950 opt=O3
	.amdgcn_target "amdgcn-amd-amdhsa--gfx950"
	.amdhsa_code_object_version 6
	.section	.text._ZN9rocsparseL14csr2coo_kernelILj256ELj2EiiEEvT2_PKT1_S4_PS1_21rocsparse_index_base_,"axG",@progbits,_ZN9rocsparseL14csr2coo_kernelILj256ELj2EiiEEvT2_PKT1_S4_PS1_21rocsparse_index_base_,comdat
	.globl	_ZN9rocsparseL14csr2coo_kernelILj256ELj2EiiEEvT2_PKT1_S4_PS1_21rocsparse_index_base_ ; -- Begin function _ZN9rocsparseL14csr2coo_kernelILj256ELj2EiiEEvT2_PKT1_S4_PS1_21rocsparse_index_base_
	.p2align	8
	.type	_ZN9rocsparseL14csr2coo_kernelILj256ELj2EiiEEvT2_PKT1_S4_PS1_21rocsparse_index_base_,@function
_ZN9rocsparseL14csr2coo_kernelILj256ELj2EiiEEvT2_PKT1_S4_PS1_21rocsparse_index_base_: ; @_ZN9rocsparseL14csr2coo_kernelILj256ELj2EiiEEvT2_PKT1_S4_PS1_21rocsparse_index_base_
; %bb.0:
	s_load_dword s20, s[0:1], 0x0
	s_load_dwordx4 s[4:7], s[0:1], 0x8
	s_load_dwordx2 s[8:9], s[0:1], 0x18
	s_load_dword s21, s[0:1], 0x20
	v_lshrrev_b32_e32 v1, 1, v0
	s_lshl_b32 s22, s2, 7
	v_or_b32_e32 v4, s22, v1
	v_mov_b32_e32 v2, 1
	v_mov_b32_e32 v6, 0
	s_waitcnt lgkmcnt(0)
	v_cmp_gt_i32_e32 vcc, s20, v4
	v_mov_b32_e32 v8, 0
	ds_write_b32 v6, v2 offset:512
	s_waitcnt lgkmcnt(0)
	s_barrier
	s_and_saveexec_b64 s[0:1], vcc
	s_cbranch_execz .LBB0_2
; %bb.1:
	v_ashrrev_i32_e32 v5, 31, v4
	v_lshl_add_u64 v[2:3], v[4:5], 2, s[4:5]
	global_load_dword v2, v[2:3], off
	s_waitcnt vmcnt(0)
	v_subrev_u32_e32 v8, s21, v2
.LBB0_2:
	s_or_b64 exec, exec, s[0:1]
	s_and_saveexec_b64 s[0:1], vcc
	s_cbranch_execz .LBB0_4
; %bb.3:
	v_ashrrev_i32_e32 v5, 31, v4
	v_lshl_add_u64 v[2:3], v[4:5], 2, s[6:7]
	global_load_dword v2, v[2:3], off
	s_waitcnt vmcnt(0)
	v_subrev_u32_e32 v6, s21, v2
.LBB0_4:
	s_or_b64 exec, exec, s[0:1]
	v_sub_u32_e32 v2, v6, v8
	v_cmp_gt_u32_e32 vcc, 17, v2
	v_cmp_lt_u32_e64 s[0:1], 16, v2
	s_and_saveexec_b64 s[2:3], s[0:1]
	s_xor_b64 s[0:1], exec, s[2:3]
; %bb.5:
	v_mov_b32_e32 v2, 0
	ds_write_b32 v2, v2 offset:512
                                        ; implicit-def: $vgpr8
                                        ; implicit-def: $vgpr6
                                        ; implicit-def: $vgpr4
; %bb.6:
	s_andn2_saveexec_b64 s[2:3], s[0:1]
	s_cbranch_execz .LBB0_18
; %bb.7:
	v_and_b32_e32 v5, 1, v0
	v_add_u32_e32 v2, v8, v5
	v_cmp_lt_i32_e64 s[0:1], v2, v6
	s_and_saveexec_b64 s[10:11], s[0:1]
	s_cbranch_execz .LBB0_17
; %bb.8:
	v_add_u32_e32 v3, 2, v2
	v_add_u32_e32 v7, s21, v4
	v_max_i32_e32 v4, v6, v3
	v_xad_u32 v4, v8, -1, v4
	v_sub_u32_e32 v4, v4, v5
	v_cmp_gt_u32_e64 s[12:13], 54, v4
	v_cmp_lt_u32_e64 s[0:1], 53, v4
	s_and_saveexec_b64 s[14:15], s[0:1]
	s_cbranch_execz .LBB0_14
; %bb.9:
	v_and_b32_e32 v5, -2, v4
	v_add_u32_e32 v5, v2, v5
	v_cmp_ge_i32_e64 s[0:1], v5, v2
	s_mov_b64 s[18:19], -1
	s_and_saveexec_b64 s[16:17], s[0:1]
	s_cbranch_execz .LBB0_13
; %bb.10:
	v_lshrrev_b32_e32 v4, 1, v4
	v_add_u32_e32 v8, 1, v4
	v_and_b32_e32 v9, -2, v8
	s_mov_b64 s[18:19], 0
	v_mov_b32_e32 v10, v9
	v_mov_b64_e32 v[4:5], v[2:3]
.LBB0_11:                               ; =>This Inner Loop Header: Depth=1
	v_add_u32_e32 v10, -2, v10
	v_ashrrev_i32_e32 v13, 31, v5
	v_mov_b32_e32 v12, v5
	v_ashrrev_i32_e32 v15, 31, v4
	v_mov_b32_e32 v14, v4
	v_cmp_eq_u32_e64 s[0:1], 0, v10
	v_add_u32_e32 v5, 4, v5
	v_add_u32_e32 v4, 4, v4
	v_lshl_add_u64 v[14:15], v[14:15], 2, s[8:9]
	v_lshl_add_u64 v[12:13], v[12:13], 2, s[8:9]
	s_or_b64 s[18:19], s[0:1], s[18:19]
	global_store_dword v[14:15], v7, off
	global_store_dword v[12:13], v7, off
	s_andn2_b64 exec, exec, s[18:19]
	s_cbranch_execnz .LBB0_11
; %bb.12:
	s_or_b64 exec, exec, s[18:19]
	v_cmp_ne_u32_e64 s[0:1], v8, v9
	v_lshl_add_u32 v2, v9, 1, v2
	s_orn2_b64 s[18:19], s[0:1], exec
.LBB0_13:
	s_or_b64 exec, exec, s[16:17]
	s_andn2_b64 s[0:1], s[12:13], exec
	s_and_b64 s[12:13], s[18:19], exec
	s_or_b64 s[12:13], s[0:1], s[12:13]
.LBB0_14:
	s_or_b64 exec, exec, s[14:15]
	s_and_b64 exec, exec, s[12:13]
	s_cbranch_execz .LBB0_17
; %bb.15:
	s_mov_b64 s[12:13], 0
.LBB0_16:                               ; =>This Inner Loop Header: Depth=1
	v_ashrrev_i32_e32 v3, 31, v2
	v_lshl_add_u64 v[4:5], v[2:3], 2, s[8:9]
	v_add_u32_e32 v2, 2, v2
	v_cmp_ge_i32_e64 s[0:1], v2, v6
	s_or_b64 s[12:13], s[0:1], s[12:13]
	global_store_dword v[4:5], v7, off
	s_andn2_b64 exec, exec, s[12:13]
	s_cbranch_execnz .LBB0_16
.LBB0_17:
	s_or_b64 exec, exec, s[10:11]
.LBB0_18:
	s_or_b64 exec, exec, s[2:3]
	v_cndmask_b32_e64 v2, 0, 1, vcc
	v_lshlrev_b32_e32 v1, 2, v1
	ds_write_b32 v1, v2
	v_mov_b32_e32 v1, 0
	s_waitcnt lgkmcnt(0)
	s_barrier
	ds_read_b32 v2, v1 offset:512
	s_mov_b32 s16, 0
	s_waitcnt lgkmcnt(0)
	v_cmp_ne_u32_e32 vcc, 0, v2
	s_cbranch_vccz .LBB0_20
.LBB0_19:
	s_endpgm
.LBB0_20:
	v_not_b32_e32 v6, v0
	s_movk_i32 s17, 0x1900
	s_movk_i32 s18, 0x18ff
	s_branch .LBB0_23
.LBB0_21:                               ;   in Loop: Header=BB0_23 Depth=1
	s_or_b64 exec, exec, s[0:1]
.LBB0_22:                               ;   in Loop: Header=BB0_23 Depth=1
	s_add_i32 s16, s16, 1
	s_cmpk_lg_i32 s16, 0x80
	s_cbranch_scc0 .LBB0_19
.LBB0_23:                               ; =>This Loop Header: Depth=1
                                        ;     Child Loop BB0_32 Depth 2
                                        ;     Child Loop BB0_37 Depth 2
	s_lshl_b32 s0, s16, 2
	v_mov_b32_e32 v2, s0
	ds_read_b32 v2, v2
	s_waitcnt lgkmcnt(0)
	v_cmp_ne_u32_e32 vcc, 0, v2
	s_cbranch_vccnz .LBB0_22
; %bb.24:                               ;   in Loop: Header=BB0_23 Depth=1
	s_or_b32 s2, s16, s22
	s_cmp_lt_i32 s2, s20
	s_cselect_b64 s[0:1], -1, 0
	s_cmp_ge_i32 s2, s20
	v_mov_b32_e32 v7, 0
	v_mov_b32_e32 v4, 0
	s_cbranch_scc0 .LBB0_27
; %bb.25:                               ;   in Loop: Header=BB0_23 Depth=1
	s_andn2_b64 vcc, exec, s[0:1]
	s_cbranch_vccz .LBB0_28
.LBB0_26:                               ;   in Loop: Header=BB0_23 Depth=1
	v_add_u32_e32 v2, v4, v0
	v_cmp_lt_i32_e32 vcc, v2, v7
	s_and_saveexec_b64 s[0:1], vcc
	s_cbranch_execz .LBB0_21
	s_branch .LBB0_29
.LBB0_27:                               ;   in Loop: Header=BB0_23 Depth=1
	s_ashr_i32 s3, s2, 31
	s_lshl_b64 s[10:11], s[2:3], 2
	s_add_u32 s10, s4, s10
	s_addc_u32 s11, s5, s11
	global_load_dword v2, v1, s[10:11]
	s_waitcnt vmcnt(0)
	v_subrev_u32_e32 v4, s21, v2
	s_andn2_b64 vcc, exec, s[0:1]
	s_cbranch_vccnz .LBB0_26
.LBB0_28:                               ;   in Loop: Header=BB0_23 Depth=1
	s_ashr_i32 s3, s2, 31
	s_lshl_b64 s[0:1], s[2:3], 2
	s_add_u32 s0, s6, s0
	s_addc_u32 s1, s7, s1
	global_load_dword v2, v1, s[0:1]
	s_waitcnt vmcnt(0)
	v_subrev_u32_e32 v7, s21, v2
	v_add_u32_e32 v2, v4, v0
	v_cmp_lt_i32_e32 vcc, v2, v7
	s_and_saveexec_b64 s[0:1], vcc
	s_cbranch_execz .LBB0_21
.LBB0_29:                               ;   in Loop: Header=BB0_23 Depth=1
	v_add_u32_e32 v3, 0x100, v2
	v_max_i32_e32 v5, v7, v3
	v_add_u32_e32 v5, v5, v6
	v_sub_u32_e32 v4, v5, v4
	s_add_i32 s19, s2, s21
	v_cmp_gt_u32_e64 s[2:3], s17, v4
	v_cmp_lt_u32_e32 vcc, s18, v4
	s_and_saveexec_b64 s[10:11], vcc
	s_cbranch_execz .LBB0_35
; %bb.30:                               ;   in Loop: Header=BB0_23 Depth=1
	v_and_b32_e32 v5, 0xffffff00, v4
	v_add_u32_e32 v5, v2, v5
	v_cmp_ge_i32_e32 vcc, v5, v2
	s_mov_b64 s[14:15], -1
	s_and_saveexec_b64 s[12:13], vcc
	s_cbranch_execz .LBB0_34
; %bb.31:                               ;   in Loop: Header=BB0_23 Depth=1
	v_lshrrev_b32_e32 v4, 8, v4
	v_add_u32_e32 v8, 1, v4
	v_and_b32_e32 v9, 0x1fffffe, v8
	s_mov_b64 s[14:15], 0
	v_mov_b32_e32 v11, s19
	v_mov_b32_e32 v10, v9
	v_mov_b64_e32 v[4:5], v[2:3]
.LBB0_32:                               ;   Parent Loop BB0_23 Depth=1
                                        ; =>  This Inner Loop Header: Depth=2
	v_add_u32_e32 v10, -2, v10
	v_ashrrev_i32_e32 v13, 31, v5
	v_mov_b32_e32 v12, v5
	v_ashrrev_i32_e32 v15, 31, v4
	v_mov_b32_e32 v14, v4
	v_cmp_eq_u32_e32 vcc, 0, v10
	v_add_u32_e32 v5, 0x200, v5
	v_add_u32_e32 v4, 0x200, v4
	v_lshl_add_u64 v[14:15], v[14:15], 2, s[8:9]
	v_lshl_add_u64 v[12:13], v[12:13], 2, s[8:9]
	s_or_b64 s[14:15], vcc, s[14:15]
	global_store_dword v[14:15], v11, off
	global_store_dword v[12:13], v11, off
	s_andn2_b64 exec, exec, s[14:15]
	s_cbranch_execnz .LBB0_32
; %bb.33:                               ;   in Loop: Header=BB0_23 Depth=1
	s_or_b64 exec, exec, s[14:15]
	v_cmp_ne_u32_e32 vcc, v8, v9
	v_lshl_add_u32 v2, v9, 8, v2
	s_orn2_b64 s[14:15], vcc, exec
.LBB0_34:                               ;   in Loop: Header=BB0_23 Depth=1
	s_or_b64 exec, exec, s[12:13]
	s_andn2_b64 s[2:3], s[2:3], exec
	s_and_b64 s[12:13], s[14:15], exec
	s_or_b64 s[2:3], s[2:3], s[12:13]
.LBB0_35:                               ;   in Loop: Header=BB0_23 Depth=1
	s_or_b64 exec, exec, s[10:11]
	s_and_b64 exec, exec, s[2:3]
	s_cbranch_execz .LBB0_21
; %bb.36:                               ;   in Loop: Header=BB0_23 Depth=1
	s_mov_b64 s[2:3], 0
	v_mov_b32_e32 v4, s19
.LBB0_37:                               ;   Parent Loop BB0_23 Depth=1
                                        ; =>  This Inner Loop Header: Depth=2
	v_ashrrev_i32_e32 v3, 31, v2
	v_lshl_add_u64 v[8:9], v[2:3], 2, s[8:9]
	v_add_u32_e32 v2, 0x100, v2
	v_cmp_ge_i32_e32 vcc, v2, v7
	s_or_b64 s[2:3], vcc, s[2:3]
	global_store_dword v[8:9], v4, off
	s_andn2_b64 exec, exec, s[2:3]
	s_cbranch_execnz .LBB0_37
	s_branch .LBB0_21
	.section	.rodata,"a",@progbits
	.p2align	6, 0x0
	.amdhsa_kernel _ZN9rocsparseL14csr2coo_kernelILj256ELj2EiiEEvT2_PKT1_S4_PS1_21rocsparse_index_base_
		.amdhsa_group_segment_fixed_size 516
		.amdhsa_private_segment_fixed_size 0
		.amdhsa_kernarg_size 36
		.amdhsa_user_sgpr_count 2
		.amdhsa_user_sgpr_dispatch_ptr 0
		.amdhsa_user_sgpr_queue_ptr 0
		.amdhsa_user_sgpr_kernarg_segment_ptr 1
		.amdhsa_user_sgpr_dispatch_id 0
		.amdhsa_user_sgpr_kernarg_preload_length 0
		.amdhsa_user_sgpr_kernarg_preload_offset 0
		.amdhsa_user_sgpr_private_segment_size 0
		.amdhsa_uses_dynamic_stack 0
		.amdhsa_enable_private_segment 0
		.amdhsa_system_sgpr_workgroup_id_x 1
		.amdhsa_system_sgpr_workgroup_id_y 0
		.amdhsa_system_sgpr_workgroup_id_z 0
		.amdhsa_system_sgpr_workgroup_info 0
		.amdhsa_system_vgpr_workitem_id 0
		.amdhsa_next_free_vgpr 16
		.amdhsa_next_free_sgpr 23
		.amdhsa_accum_offset 16
		.amdhsa_reserve_vcc 1
		.amdhsa_float_round_mode_32 0
		.amdhsa_float_round_mode_16_64 0
		.amdhsa_float_denorm_mode_32 3
		.amdhsa_float_denorm_mode_16_64 3
		.amdhsa_dx10_clamp 1
		.amdhsa_ieee_mode 1
		.amdhsa_fp16_overflow 0
		.amdhsa_tg_split 0
		.amdhsa_exception_fp_ieee_invalid_op 0
		.amdhsa_exception_fp_denorm_src 0
		.amdhsa_exception_fp_ieee_div_zero 0
		.amdhsa_exception_fp_ieee_overflow 0
		.amdhsa_exception_fp_ieee_underflow 0
		.amdhsa_exception_fp_ieee_inexact 0
		.amdhsa_exception_int_div_zero 0
	.end_amdhsa_kernel
	.section	.text._ZN9rocsparseL14csr2coo_kernelILj256ELj2EiiEEvT2_PKT1_S4_PS1_21rocsparse_index_base_,"axG",@progbits,_ZN9rocsparseL14csr2coo_kernelILj256ELj2EiiEEvT2_PKT1_S4_PS1_21rocsparse_index_base_,comdat
.Lfunc_end0:
	.size	_ZN9rocsparseL14csr2coo_kernelILj256ELj2EiiEEvT2_PKT1_S4_PS1_21rocsparse_index_base_, .Lfunc_end0-_ZN9rocsparseL14csr2coo_kernelILj256ELj2EiiEEvT2_PKT1_S4_PS1_21rocsparse_index_base_
                                        ; -- End function
	.set _ZN9rocsparseL14csr2coo_kernelILj256ELj2EiiEEvT2_PKT1_S4_PS1_21rocsparse_index_base_.num_vgpr, 16
	.set _ZN9rocsparseL14csr2coo_kernelILj256ELj2EiiEEvT2_PKT1_S4_PS1_21rocsparse_index_base_.num_agpr, 0
	.set _ZN9rocsparseL14csr2coo_kernelILj256ELj2EiiEEvT2_PKT1_S4_PS1_21rocsparse_index_base_.numbered_sgpr, 23
	.set _ZN9rocsparseL14csr2coo_kernelILj256ELj2EiiEEvT2_PKT1_S4_PS1_21rocsparse_index_base_.num_named_barrier, 0
	.set _ZN9rocsparseL14csr2coo_kernelILj256ELj2EiiEEvT2_PKT1_S4_PS1_21rocsparse_index_base_.private_seg_size, 0
	.set _ZN9rocsparseL14csr2coo_kernelILj256ELj2EiiEEvT2_PKT1_S4_PS1_21rocsparse_index_base_.uses_vcc, 1
	.set _ZN9rocsparseL14csr2coo_kernelILj256ELj2EiiEEvT2_PKT1_S4_PS1_21rocsparse_index_base_.uses_flat_scratch, 0
	.set _ZN9rocsparseL14csr2coo_kernelILj256ELj2EiiEEvT2_PKT1_S4_PS1_21rocsparse_index_base_.has_dyn_sized_stack, 0
	.set _ZN9rocsparseL14csr2coo_kernelILj256ELj2EiiEEvT2_PKT1_S4_PS1_21rocsparse_index_base_.has_recursion, 0
	.set _ZN9rocsparseL14csr2coo_kernelILj256ELj2EiiEEvT2_PKT1_S4_PS1_21rocsparse_index_base_.has_indirect_call, 0
	.section	.AMDGPU.csdata,"",@progbits
; Kernel info:
; codeLenInByte = 1072
; TotalNumSgprs: 29
; NumVgprs: 16
; NumAgprs: 0
; TotalNumVgprs: 16
; ScratchSize: 0
; MemoryBound: 0
; FloatMode: 240
; IeeeMode: 1
; LDSByteSize: 516 bytes/workgroup (compile time only)
; SGPRBlocks: 3
; VGPRBlocks: 1
; NumSGPRsForWavesPerEU: 29
; NumVGPRsForWavesPerEU: 16
; AccumOffset: 16
; Occupancy: 8
; WaveLimiterHint : 0
; COMPUTE_PGM_RSRC2:SCRATCH_EN: 0
; COMPUTE_PGM_RSRC2:USER_SGPR: 2
; COMPUTE_PGM_RSRC2:TRAP_HANDLER: 0
; COMPUTE_PGM_RSRC2:TGID_X_EN: 1
; COMPUTE_PGM_RSRC2:TGID_Y_EN: 0
; COMPUTE_PGM_RSRC2:TGID_Z_EN: 0
; COMPUTE_PGM_RSRC2:TIDIG_COMP_CNT: 0
; COMPUTE_PGM_RSRC3_GFX90A:ACCUM_OFFSET: 3
; COMPUTE_PGM_RSRC3_GFX90A:TG_SPLIT: 0
	.section	.text._ZN9rocsparseL14csr2coo_kernelILj256ELj4EiiEEvT2_PKT1_S4_PS1_21rocsparse_index_base_,"axG",@progbits,_ZN9rocsparseL14csr2coo_kernelILj256ELj4EiiEEvT2_PKT1_S4_PS1_21rocsparse_index_base_,comdat
	.globl	_ZN9rocsparseL14csr2coo_kernelILj256ELj4EiiEEvT2_PKT1_S4_PS1_21rocsparse_index_base_ ; -- Begin function _ZN9rocsparseL14csr2coo_kernelILj256ELj4EiiEEvT2_PKT1_S4_PS1_21rocsparse_index_base_
	.p2align	8
	.type	_ZN9rocsparseL14csr2coo_kernelILj256ELj4EiiEEvT2_PKT1_S4_PS1_21rocsparse_index_base_,@function
_ZN9rocsparseL14csr2coo_kernelILj256ELj4EiiEEvT2_PKT1_S4_PS1_21rocsparse_index_base_: ; @_ZN9rocsparseL14csr2coo_kernelILj256ELj4EiiEEvT2_PKT1_S4_PS1_21rocsparse_index_base_
; %bb.0:
	s_load_dword s20, s[0:1], 0x0
	s_load_dwordx4 s[4:7], s[0:1], 0x8
	s_load_dwordx2 s[8:9], s[0:1], 0x18
	s_load_dword s21, s[0:1], 0x20
	v_lshrrev_b32_e32 v1, 2, v0
	s_lshl_b32 s22, s2, 6
	v_or_b32_e32 v4, s22, v1
	v_mov_b32_e32 v2, 1
	v_mov_b32_e32 v6, 0
	s_waitcnt lgkmcnt(0)
	v_cmp_gt_i32_e32 vcc, s20, v4
	v_mov_b32_e32 v8, 0
	ds_write_b32 v6, v2 offset:256
	s_waitcnt lgkmcnt(0)
	s_barrier
	s_and_saveexec_b64 s[0:1], vcc
	s_cbranch_execz .LBB1_2
; %bb.1:
	v_ashrrev_i32_e32 v5, 31, v4
	v_lshl_add_u64 v[2:3], v[4:5], 2, s[4:5]
	global_load_dword v2, v[2:3], off
	s_waitcnt vmcnt(0)
	v_subrev_u32_e32 v8, s21, v2
.LBB1_2:
	s_or_b64 exec, exec, s[0:1]
	s_and_saveexec_b64 s[0:1], vcc
	s_cbranch_execz .LBB1_4
; %bb.3:
	v_ashrrev_i32_e32 v5, 31, v4
	v_lshl_add_u64 v[2:3], v[4:5], 2, s[6:7]
	global_load_dword v2, v[2:3], off
	s_waitcnt vmcnt(0)
	v_subrev_u32_e32 v6, s21, v2
.LBB1_4:
	s_or_b64 exec, exec, s[0:1]
	v_sub_u32_e32 v2, v6, v8
	v_cmp_gt_u32_e32 vcc, 33, v2
	v_cmp_lt_u32_e64 s[0:1], 32, v2
	s_and_saveexec_b64 s[2:3], s[0:1]
	s_xor_b64 s[0:1], exec, s[2:3]
; %bb.5:
	v_mov_b32_e32 v2, 0
	ds_write_b32 v2, v2 offset:256
                                        ; implicit-def: $vgpr8
                                        ; implicit-def: $vgpr6
                                        ; implicit-def: $vgpr4
; %bb.6:
	s_andn2_saveexec_b64 s[2:3], s[0:1]
	s_cbranch_execz .LBB1_18
; %bb.7:
	v_and_b32_e32 v5, 3, v0
	v_add_u32_e32 v2, v8, v5
	v_cmp_lt_i32_e64 s[0:1], v2, v6
	s_and_saveexec_b64 s[10:11], s[0:1]
	s_cbranch_execz .LBB1_17
; %bb.8:
	v_add_u32_e32 v3, 4, v2
	v_add_u32_e32 v7, s21, v4
	v_max_i32_e32 v4, v6, v3
	v_xad_u32 v4, v8, -1, v4
	v_sub_u32_e32 v4, v4, v5
	s_movk_i32 s0, 0x6c
	v_cmp_gt_u32_e64 s[12:13], s0, v4
	s_movk_i32 s0, 0x6b
	v_cmp_lt_u32_e64 s[0:1], s0, v4
	s_and_saveexec_b64 s[14:15], s[0:1]
	s_cbranch_execz .LBB1_14
; %bb.9:
	v_and_b32_e32 v5, -4, v4
	v_add_u32_e32 v5, v2, v5
	v_cmp_ge_i32_e64 s[0:1], v5, v2
	s_mov_b64 s[18:19], -1
	s_and_saveexec_b64 s[16:17], s[0:1]
	s_cbranch_execz .LBB1_13
; %bb.10:
	v_lshrrev_b32_e32 v4, 2, v4
	v_add_u32_e32 v8, 1, v4
	v_and_b32_e32 v9, 0x7ffffffe, v8
	s_mov_b64 s[18:19], 0
	v_mov_b32_e32 v10, v9
	v_mov_b64_e32 v[4:5], v[2:3]
.LBB1_11:                               ; =>This Inner Loop Header: Depth=1
	v_add_u32_e32 v10, -2, v10
	v_ashrrev_i32_e32 v13, 31, v5
	v_mov_b32_e32 v12, v5
	v_ashrrev_i32_e32 v15, 31, v4
	v_mov_b32_e32 v14, v4
	v_cmp_eq_u32_e64 s[0:1], 0, v10
	v_add_u32_e32 v5, 8, v5
	v_add_u32_e32 v4, 8, v4
	v_lshl_add_u64 v[14:15], v[14:15], 2, s[8:9]
	v_lshl_add_u64 v[12:13], v[12:13], 2, s[8:9]
	s_or_b64 s[18:19], s[0:1], s[18:19]
	global_store_dword v[14:15], v7, off
	global_store_dword v[12:13], v7, off
	s_andn2_b64 exec, exec, s[18:19]
	s_cbranch_execnz .LBB1_11
; %bb.12:
	s_or_b64 exec, exec, s[18:19]
	v_cmp_ne_u32_e64 s[0:1], v8, v9
	v_lshl_add_u32 v2, v9, 2, v2
	s_orn2_b64 s[18:19], s[0:1], exec
.LBB1_13:
	s_or_b64 exec, exec, s[16:17]
	s_andn2_b64 s[0:1], s[12:13], exec
	s_and_b64 s[12:13], s[18:19], exec
	s_or_b64 s[12:13], s[0:1], s[12:13]
.LBB1_14:
	s_or_b64 exec, exec, s[14:15]
	s_and_b64 exec, exec, s[12:13]
	s_cbranch_execz .LBB1_17
; %bb.15:
	s_mov_b64 s[12:13], 0
.LBB1_16:                               ; =>This Inner Loop Header: Depth=1
	v_ashrrev_i32_e32 v3, 31, v2
	v_lshl_add_u64 v[4:5], v[2:3], 2, s[8:9]
	v_add_u32_e32 v2, 4, v2
	v_cmp_ge_i32_e64 s[0:1], v2, v6
	s_or_b64 s[12:13], s[0:1], s[12:13]
	global_store_dword v[4:5], v7, off
	s_andn2_b64 exec, exec, s[12:13]
	s_cbranch_execnz .LBB1_16
.LBB1_17:
	s_or_b64 exec, exec, s[10:11]
.LBB1_18:
	s_or_b64 exec, exec, s[2:3]
	v_cndmask_b32_e64 v2, 0, 1, vcc
	v_lshlrev_b32_e32 v1, 2, v1
	ds_write_b32 v1, v2
	v_mov_b32_e32 v1, 0
	s_waitcnt lgkmcnt(0)
	s_barrier
	ds_read_b32 v2, v1 offset:256
	s_mov_b32 s16, 0
	s_waitcnt lgkmcnt(0)
	v_cmp_ne_u32_e32 vcc, 0, v2
	s_cbranch_vccz .LBB1_20
.LBB1_19:
	s_endpgm
.LBB1_20:
	v_not_b32_e32 v6, v0
	s_movk_i32 s17, 0x1900
	s_movk_i32 s18, 0x18ff
	s_branch .LBB1_23
.LBB1_21:                               ;   in Loop: Header=BB1_23 Depth=1
	s_or_b64 exec, exec, s[0:1]
.LBB1_22:                               ;   in Loop: Header=BB1_23 Depth=1
	s_add_i32 s16, s16, 1
	s_cmp_lg_u32 s16, 64
	s_cbranch_scc0 .LBB1_19
.LBB1_23:                               ; =>This Loop Header: Depth=1
                                        ;     Child Loop BB1_32 Depth 2
                                        ;     Child Loop BB1_37 Depth 2
	s_lshl_b32 s0, s16, 2
	v_mov_b32_e32 v2, s0
	ds_read_b32 v2, v2
	s_waitcnt lgkmcnt(0)
	v_cmp_ne_u32_e32 vcc, 0, v2
	s_cbranch_vccnz .LBB1_22
; %bb.24:                               ;   in Loop: Header=BB1_23 Depth=1
	s_or_b32 s2, s16, s22
	s_cmp_lt_i32 s2, s20
	s_cselect_b64 s[0:1], -1, 0
	s_cmp_ge_i32 s2, s20
	v_mov_b32_e32 v7, 0
	v_mov_b32_e32 v4, 0
	s_cbranch_scc0 .LBB1_27
; %bb.25:                               ;   in Loop: Header=BB1_23 Depth=1
	s_andn2_b64 vcc, exec, s[0:1]
	s_cbranch_vccz .LBB1_28
.LBB1_26:                               ;   in Loop: Header=BB1_23 Depth=1
	v_add_u32_e32 v2, v4, v0
	v_cmp_lt_i32_e32 vcc, v2, v7
	s_and_saveexec_b64 s[0:1], vcc
	s_cbranch_execz .LBB1_21
	s_branch .LBB1_29
.LBB1_27:                               ;   in Loop: Header=BB1_23 Depth=1
	s_ashr_i32 s3, s2, 31
	s_lshl_b64 s[10:11], s[2:3], 2
	s_add_u32 s10, s4, s10
	s_addc_u32 s11, s5, s11
	global_load_dword v2, v1, s[10:11]
	s_waitcnt vmcnt(0)
	v_subrev_u32_e32 v4, s21, v2
	s_andn2_b64 vcc, exec, s[0:1]
	s_cbranch_vccnz .LBB1_26
.LBB1_28:                               ;   in Loop: Header=BB1_23 Depth=1
	s_ashr_i32 s3, s2, 31
	s_lshl_b64 s[0:1], s[2:3], 2
	s_add_u32 s0, s6, s0
	s_addc_u32 s1, s7, s1
	global_load_dword v2, v1, s[0:1]
	s_waitcnt vmcnt(0)
	v_subrev_u32_e32 v7, s21, v2
	v_add_u32_e32 v2, v4, v0
	v_cmp_lt_i32_e32 vcc, v2, v7
	s_and_saveexec_b64 s[0:1], vcc
	s_cbranch_execz .LBB1_21
.LBB1_29:                               ;   in Loop: Header=BB1_23 Depth=1
	v_add_u32_e32 v3, 0x100, v2
	v_max_i32_e32 v5, v7, v3
	v_add_u32_e32 v5, v5, v6
	v_sub_u32_e32 v4, v5, v4
	s_add_i32 s19, s2, s21
	v_cmp_gt_u32_e64 s[2:3], s17, v4
	v_cmp_lt_u32_e32 vcc, s18, v4
	s_and_saveexec_b64 s[10:11], vcc
	s_cbranch_execz .LBB1_35
; %bb.30:                               ;   in Loop: Header=BB1_23 Depth=1
	v_and_b32_e32 v5, 0xffffff00, v4
	v_add_u32_e32 v5, v2, v5
	v_cmp_ge_i32_e32 vcc, v5, v2
	s_mov_b64 s[14:15], -1
	s_and_saveexec_b64 s[12:13], vcc
	s_cbranch_execz .LBB1_34
; %bb.31:                               ;   in Loop: Header=BB1_23 Depth=1
	v_lshrrev_b32_e32 v4, 8, v4
	v_add_u32_e32 v8, 1, v4
	v_and_b32_e32 v9, 0x1fffffe, v8
	s_mov_b64 s[14:15], 0
	v_mov_b32_e32 v11, s19
	v_mov_b32_e32 v10, v9
	v_mov_b64_e32 v[4:5], v[2:3]
.LBB1_32:                               ;   Parent Loop BB1_23 Depth=1
                                        ; =>  This Inner Loop Header: Depth=2
	v_add_u32_e32 v10, -2, v10
	v_ashrrev_i32_e32 v13, 31, v5
	v_mov_b32_e32 v12, v5
	v_ashrrev_i32_e32 v15, 31, v4
	v_mov_b32_e32 v14, v4
	v_cmp_eq_u32_e32 vcc, 0, v10
	v_add_u32_e32 v5, 0x200, v5
	v_add_u32_e32 v4, 0x200, v4
	v_lshl_add_u64 v[14:15], v[14:15], 2, s[8:9]
	v_lshl_add_u64 v[12:13], v[12:13], 2, s[8:9]
	s_or_b64 s[14:15], vcc, s[14:15]
	global_store_dword v[14:15], v11, off
	global_store_dword v[12:13], v11, off
	s_andn2_b64 exec, exec, s[14:15]
	s_cbranch_execnz .LBB1_32
; %bb.33:                               ;   in Loop: Header=BB1_23 Depth=1
	s_or_b64 exec, exec, s[14:15]
	v_cmp_ne_u32_e32 vcc, v8, v9
	v_lshl_add_u32 v2, v9, 8, v2
	s_orn2_b64 s[14:15], vcc, exec
.LBB1_34:                               ;   in Loop: Header=BB1_23 Depth=1
	s_or_b64 exec, exec, s[12:13]
	s_andn2_b64 s[2:3], s[2:3], exec
	s_and_b64 s[12:13], s[14:15], exec
	s_or_b64 s[2:3], s[2:3], s[12:13]
.LBB1_35:                               ;   in Loop: Header=BB1_23 Depth=1
	s_or_b64 exec, exec, s[10:11]
	s_and_b64 exec, exec, s[2:3]
	s_cbranch_execz .LBB1_21
; %bb.36:                               ;   in Loop: Header=BB1_23 Depth=1
	s_mov_b64 s[2:3], 0
	v_mov_b32_e32 v4, s19
.LBB1_37:                               ;   Parent Loop BB1_23 Depth=1
                                        ; =>  This Inner Loop Header: Depth=2
	v_ashrrev_i32_e32 v3, 31, v2
	v_lshl_add_u64 v[8:9], v[2:3], 2, s[8:9]
	v_add_u32_e32 v2, 0x100, v2
	v_cmp_ge_i32_e32 vcc, v2, v7
	s_or_b64 s[2:3], vcc, s[2:3]
	global_store_dword v[8:9], v4, off
	s_andn2_b64 exec, exec, s[2:3]
	s_cbranch_execnz .LBB1_37
	s_branch .LBB1_21
	.section	.rodata,"a",@progbits
	.p2align	6, 0x0
	.amdhsa_kernel _ZN9rocsparseL14csr2coo_kernelILj256ELj4EiiEEvT2_PKT1_S4_PS1_21rocsparse_index_base_
		.amdhsa_group_segment_fixed_size 260
		.amdhsa_private_segment_fixed_size 0
		.amdhsa_kernarg_size 36
		.amdhsa_user_sgpr_count 2
		.amdhsa_user_sgpr_dispatch_ptr 0
		.amdhsa_user_sgpr_queue_ptr 0
		.amdhsa_user_sgpr_kernarg_segment_ptr 1
		.amdhsa_user_sgpr_dispatch_id 0
		.amdhsa_user_sgpr_kernarg_preload_length 0
		.amdhsa_user_sgpr_kernarg_preload_offset 0
		.amdhsa_user_sgpr_private_segment_size 0
		.amdhsa_uses_dynamic_stack 0
		.amdhsa_enable_private_segment 0
		.amdhsa_system_sgpr_workgroup_id_x 1
		.amdhsa_system_sgpr_workgroup_id_y 0
		.amdhsa_system_sgpr_workgroup_id_z 0
		.amdhsa_system_sgpr_workgroup_info 0
		.amdhsa_system_vgpr_workitem_id 0
		.amdhsa_next_free_vgpr 16
		.amdhsa_next_free_sgpr 23
		.amdhsa_accum_offset 16
		.amdhsa_reserve_vcc 1
		.amdhsa_float_round_mode_32 0
		.amdhsa_float_round_mode_16_64 0
		.amdhsa_float_denorm_mode_32 3
		.amdhsa_float_denorm_mode_16_64 3
		.amdhsa_dx10_clamp 1
		.amdhsa_ieee_mode 1
		.amdhsa_fp16_overflow 0
		.amdhsa_tg_split 0
		.amdhsa_exception_fp_ieee_invalid_op 0
		.amdhsa_exception_fp_denorm_src 0
		.amdhsa_exception_fp_ieee_div_zero 0
		.amdhsa_exception_fp_ieee_overflow 0
		.amdhsa_exception_fp_ieee_underflow 0
		.amdhsa_exception_fp_ieee_inexact 0
		.amdhsa_exception_int_div_zero 0
	.end_amdhsa_kernel
	.section	.text._ZN9rocsparseL14csr2coo_kernelILj256ELj4EiiEEvT2_PKT1_S4_PS1_21rocsparse_index_base_,"axG",@progbits,_ZN9rocsparseL14csr2coo_kernelILj256ELj4EiiEEvT2_PKT1_S4_PS1_21rocsparse_index_base_,comdat
.Lfunc_end1:
	.size	_ZN9rocsparseL14csr2coo_kernelILj256ELj4EiiEEvT2_PKT1_S4_PS1_21rocsparse_index_base_, .Lfunc_end1-_ZN9rocsparseL14csr2coo_kernelILj256ELj4EiiEEvT2_PKT1_S4_PS1_21rocsparse_index_base_
                                        ; -- End function
	.set _ZN9rocsparseL14csr2coo_kernelILj256ELj4EiiEEvT2_PKT1_S4_PS1_21rocsparse_index_base_.num_vgpr, 16
	.set _ZN9rocsparseL14csr2coo_kernelILj256ELj4EiiEEvT2_PKT1_S4_PS1_21rocsparse_index_base_.num_agpr, 0
	.set _ZN9rocsparseL14csr2coo_kernelILj256ELj4EiiEEvT2_PKT1_S4_PS1_21rocsparse_index_base_.numbered_sgpr, 23
	.set _ZN9rocsparseL14csr2coo_kernelILj256ELj4EiiEEvT2_PKT1_S4_PS1_21rocsparse_index_base_.num_named_barrier, 0
	.set _ZN9rocsparseL14csr2coo_kernelILj256ELj4EiiEEvT2_PKT1_S4_PS1_21rocsparse_index_base_.private_seg_size, 0
	.set _ZN9rocsparseL14csr2coo_kernelILj256ELj4EiiEEvT2_PKT1_S4_PS1_21rocsparse_index_base_.uses_vcc, 1
	.set _ZN9rocsparseL14csr2coo_kernelILj256ELj4EiiEEvT2_PKT1_S4_PS1_21rocsparse_index_base_.uses_flat_scratch, 0
	.set _ZN9rocsparseL14csr2coo_kernelILj256ELj4EiiEEvT2_PKT1_S4_PS1_21rocsparse_index_base_.has_dyn_sized_stack, 0
	.set _ZN9rocsparseL14csr2coo_kernelILj256ELj4EiiEEvT2_PKT1_S4_PS1_21rocsparse_index_base_.has_recursion, 0
	.set _ZN9rocsparseL14csr2coo_kernelILj256ELj4EiiEEvT2_PKT1_S4_PS1_21rocsparse_index_base_.has_indirect_call, 0
	.section	.AMDGPU.csdata,"",@progbits
; Kernel info:
; codeLenInByte = 1084
; TotalNumSgprs: 29
; NumVgprs: 16
; NumAgprs: 0
; TotalNumVgprs: 16
; ScratchSize: 0
; MemoryBound: 0
; FloatMode: 240
; IeeeMode: 1
; LDSByteSize: 260 bytes/workgroup (compile time only)
; SGPRBlocks: 3
; VGPRBlocks: 1
; NumSGPRsForWavesPerEU: 29
; NumVGPRsForWavesPerEU: 16
; AccumOffset: 16
; Occupancy: 8
; WaveLimiterHint : 0
; COMPUTE_PGM_RSRC2:SCRATCH_EN: 0
; COMPUTE_PGM_RSRC2:USER_SGPR: 2
; COMPUTE_PGM_RSRC2:TRAP_HANDLER: 0
; COMPUTE_PGM_RSRC2:TGID_X_EN: 1
; COMPUTE_PGM_RSRC2:TGID_Y_EN: 0
; COMPUTE_PGM_RSRC2:TGID_Z_EN: 0
; COMPUTE_PGM_RSRC2:TIDIG_COMP_CNT: 0
; COMPUTE_PGM_RSRC3_GFX90A:ACCUM_OFFSET: 3
; COMPUTE_PGM_RSRC3_GFX90A:TG_SPLIT: 0
	.section	.text._ZN9rocsparseL14csr2coo_kernelILj256ELj8EiiEEvT2_PKT1_S4_PS1_21rocsparse_index_base_,"axG",@progbits,_ZN9rocsparseL14csr2coo_kernelILj256ELj8EiiEEvT2_PKT1_S4_PS1_21rocsparse_index_base_,comdat
	.globl	_ZN9rocsparseL14csr2coo_kernelILj256ELj8EiiEEvT2_PKT1_S4_PS1_21rocsparse_index_base_ ; -- Begin function _ZN9rocsparseL14csr2coo_kernelILj256ELj8EiiEEvT2_PKT1_S4_PS1_21rocsparse_index_base_
	.p2align	8
	.type	_ZN9rocsparseL14csr2coo_kernelILj256ELj8EiiEEvT2_PKT1_S4_PS1_21rocsparse_index_base_,@function
_ZN9rocsparseL14csr2coo_kernelILj256ELj8EiiEEvT2_PKT1_S4_PS1_21rocsparse_index_base_: ; @_ZN9rocsparseL14csr2coo_kernelILj256ELj8EiiEEvT2_PKT1_S4_PS1_21rocsparse_index_base_
; %bb.0:
	s_load_dword s20, s[0:1], 0x0
	s_load_dwordx4 s[4:7], s[0:1], 0x8
	s_load_dwordx2 s[8:9], s[0:1], 0x18
	s_load_dword s21, s[0:1], 0x20
	v_lshrrev_b32_e32 v1, 3, v0
	s_lshl_b32 s22, s2, 5
	v_or_b32_e32 v4, s22, v1
	v_mov_b32_e32 v2, 1
	v_mov_b32_e32 v6, 0
	s_waitcnt lgkmcnt(0)
	v_cmp_gt_i32_e32 vcc, s20, v4
	v_mov_b32_e32 v8, 0
	ds_write_b32 v6, v2 offset:128
	s_waitcnt lgkmcnt(0)
	s_barrier
	s_and_saveexec_b64 s[0:1], vcc
	s_cbranch_execz .LBB2_2
; %bb.1:
	v_ashrrev_i32_e32 v5, 31, v4
	v_lshl_add_u64 v[2:3], v[4:5], 2, s[4:5]
	global_load_dword v2, v[2:3], off
	s_waitcnt vmcnt(0)
	v_subrev_u32_e32 v8, s21, v2
.LBB2_2:
	s_or_b64 exec, exec, s[0:1]
	s_and_saveexec_b64 s[0:1], vcc
	s_cbranch_execz .LBB2_4
; %bb.3:
	v_ashrrev_i32_e32 v5, 31, v4
	v_lshl_add_u64 v[2:3], v[4:5], 2, s[6:7]
	global_load_dword v2, v[2:3], off
	s_waitcnt vmcnt(0)
	v_subrev_u32_e32 v6, s21, v2
.LBB2_4:
	s_or_b64 exec, exec, s[0:1]
	v_sub_u32_e32 v2, v6, v8
	s_movk_i32 s0, 0x41
	v_cmp_gt_u32_e32 vcc, s0, v2
	v_cmp_lt_u32_e64 s[0:1], 64, v2
	s_and_saveexec_b64 s[2:3], s[0:1]
	s_xor_b64 s[0:1], exec, s[2:3]
; %bb.5:
	v_mov_b32_e32 v2, 0
	ds_write_b32 v2, v2 offset:128
                                        ; implicit-def: $vgpr8
                                        ; implicit-def: $vgpr6
                                        ; implicit-def: $vgpr4
; %bb.6:
	s_andn2_saveexec_b64 s[2:3], s[0:1]
	s_cbranch_execz .LBB2_18
; %bb.7:
	v_and_b32_e32 v5, 7, v0
	v_add_u32_e32 v2, v8, v5
	v_cmp_lt_i32_e64 s[0:1], v2, v6
	s_and_saveexec_b64 s[10:11], s[0:1]
	s_cbranch_execz .LBB2_17
; %bb.8:
	v_add_u32_e32 v3, 8, v2
	v_add_u32_e32 v7, s21, v4
	v_max_i32_e32 v4, v6, v3
	v_xad_u32 v4, v8, -1, v4
	v_sub_u32_e32 v4, v4, v5
	s_movk_i32 s0, 0xd8
	v_cmp_gt_u32_e64 s[12:13], s0, v4
	s_movk_i32 s0, 0xd7
	v_cmp_lt_u32_e64 s[0:1], s0, v4
	s_and_saveexec_b64 s[14:15], s[0:1]
	s_cbranch_execz .LBB2_14
; %bb.9:
	v_and_b32_e32 v5, -8, v4
	v_add_u32_e32 v5, v2, v5
	v_cmp_ge_i32_e64 s[0:1], v5, v2
	s_mov_b64 s[18:19], -1
	s_and_saveexec_b64 s[16:17], s[0:1]
	s_cbranch_execz .LBB2_13
; %bb.10:
	v_lshrrev_b32_e32 v4, 3, v4
	v_add_u32_e32 v8, 1, v4
	v_and_b32_e32 v9, 0x3ffffffe, v8
	s_mov_b64 s[18:19], 0
	v_mov_b32_e32 v10, v9
	v_mov_b64_e32 v[4:5], v[2:3]
.LBB2_11:                               ; =>This Inner Loop Header: Depth=1
	v_add_u32_e32 v10, -2, v10
	v_ashrrev_i32_e32 v13, 31, v5
	v_mov_b32_e32 v12, v5
	v_ashrrev_i32_e32 v15, 31, v4
	v_mov_b32_e32 v14, v4
	v_cmp_eq_u32_e64 s[0:1], 0, v10
	v_add_u32_e32 v5, 16, v5
	v_add_u32_e32 v4, 16, v4
	v_lshl_add_u64 v[14:15], v[14:15], 2, s[8:9]
	v_lshl_add_u64 v[12:13], v[12:13], 2, s[8:9]
	s_or_b64 s[18:19], s[0:1], s[18:19]
	global_store_dword v[14:15], v7, off
	global_store_dword v[12:13], v7, off
	s_andn2_b64 exec, exec, s[18:19]
	s_cbranch_execnz .LBB2_11
; %bb.12:
	s_or_b64 exec, exec, s[18:19]
	v_cmp_ne_u32_e64 s[0:1], v8, v9
	v_lshl_add_u32 v2, v9, 3, v2
	s_orn2_b64 s[18:19], s[0:1], exec
.LBB2_13:
	s_or_b64 exec, exec, s[16:17]
	s_andn2_b64 s[0:1], s[12:13], exec
	s_and_b64 s[12:13], s[18:19], exec
	s_or_b64 s[12:13], s[0:1], s[12:13]
.LBB2_14:
	s_or_b64 exec, exec, s[14:15]
	s_and_b64 exec, exec, s[12:13]
	s_cbranch_execz .LBB2_17
; %bb.15:
	s_mov_b64 s[12:13], 0
.LBB2_16:                               ; =>This Inner Loop Header: Depth=1
	v_ashrrev_i32_e32 v3, 31, v2
	v_lshl_add_u64 v[4:5], v[2:3], 2, s[8:9]
	v_add_u32_e32 v2, 8, v2
	v_cmp_ge_i32_e64 s[0:1], v2, v6
	s_or_b64 s[12:13], s[0:1], s[12:13]
	global_store_dword v[4:5], v7, off
	s_andn2_b64 exec, exec, s[12:13]
	s_cbranch_execnz .LBB2_16
.LBB2_17:
	s_or_b64 exec, exec, s[10:11]
.LBB2_18:
	s_or_b64 exec, exec, s[2:3]
	v_cndmask_b32_e64 v2, 0, 1, vcc
	v_lshlrev_b32_e32 v1, 2, v1
	ds_write_b32 v1, v2
	v_mov_b32_e32 v1, 0
	s_waitcnt lgkmcnt(0)
	s_barrier
	ds_read_b32 v2, v1 offset:128
	s_mov_b32 s16, 0
	s_waitcnt lgkmcnt(0)
	v_cmp_ne_u32_e32 vcc, 0, v2
	s_cbranch_vccz .LBB2_20
.LBB2_19:
	s_endpgm
.LBB2_20:
	v_not_b32_e32 v6, v0
	s_movk_i32 s17, 0x1900
	s_movk_i32 s18, 0x18ff
	s_branch .LBB2_23
.LBB2_21:                               ;   in Loop: Header=BB2_23 Depth=1
	s_or_b64 exec, exec, s[0:1]
.LBB2_22:                               ;   in Loop: Header=BB2_23 Depth=1
	s_add_i32 s16, s16, 1
	s_cmp_lg_u32 s16, 32
	s_cbranch_scc0 .LBB2_19
.LBB2_23:                               ; =>This Loop Header: Depth=1
                                        ;     Child Loop BB2_32 Depth 2
                                        ;     Child Loop BB2_37 Depth 2
	s_lshl_b32 s0, s16, 2
	v_mov_b32_e32 v2, s0
	ds_read_b32 v2, v2
	s_waitcnt lgkmcnt(0)
	v_cmp_ne_u32_e32 vcc, 0, v2
	s_cbranch_vccnz .LBB2_22
; %bb.24:                               ;   in Loop: Header=BB2_23 Depth=1
	s_or_b32 s2, s16, s22
	s_cmp_lt_i32 s2, s20
	s_cselect_b64 s[0:1], -1, 0
	s_cmp_ge_i32 s2, s20
	v_mov_b32_e32 v7, 0
	v_mov_b32_e32 v4, 0
	s_cbranch_scc0 .LBB2_27
; %bb.25:                               ;   in Loop: Header=BB2_23 Depth=1
	s_andn2_b64 vcc, exec, s[0:1]
	s_cbranch_vccz .LBB2_28
.LBB2_26:                               ;   in Loop: Header=BB2_23 Depth=1
	v_add_u32_e32 v2, v4, v0
	v_cmp_lt_i32_e32 vcc, v2, v7
	s_and_saveexec_b64 s[0:1], vcc
	s_cbranch_execz .LBB2_21
	s_branch .LBB2_29
.LBB2_27:                               ;   in Loop: Header=BB2_23 Depth=1
	s_ashr_i32 s3, s2, 31
	s_lshl_b64 s[10:11], s[2:3], 2
	s_add_u32 s10, s4, s10
	s_addc_u32 s11, s5, s11
	global_load_dword v2, v1, s[10:11]
	s_waitcnt vmcnt(0)
	v_subrev_u32_e32 v4, s21, v2
	s_andn2_b64 vcc, exec, s[0:1]
	s_cbranch_vccnz .LBB2_26
.LBB2_28:                               ;   in Loop: Header=BB2_23 Depth=1
	s_ashr_i32 s3, s2, 31
	s_lshl_b64 s[0:1], s[2:3], 2
	s_add_u32 s0, s6, s0
	s_addc_u32 s1, s7, s1
	global_load_dword v2, v1, s[0:1]
	s_waitcnt vmcnt(0)
	v_subrev_u32_e32 v7, s21, v2
	v_add_u32_e32 v2, v4, v0
	v_cmp_lt_i32_e32 vcc, v2, v7
	s_and_saveexec_b64 s[0:1], vcc
	s_cbranch_execz .LBB2_21
.LBB2_29:                               ;   in Loop: Header=BB2_23 Depth=1
	v_add_u32_e32 v3, 0x100, v2
	v_max_i32_e32 v5, v7, v3
	v_add_u32_e32 v5, v5, v6
	v_sub_u32_e32 v4, v5, v4
	s_add_i32 s19, s2, s21
	v_cmp_gt_u32_e64 s[2:3], s17, v4
	v_cmp_lt_u32_e32 vcc, s18, v4
	s_and_saveexec_b64 s[10:11], vcc
	s_cbranch_execz .LBB2_35
; %bb.30:                               ;   in Loop: Header=BB2_23 Depth=1
	v_and_b32_e32 v5, 0xffffff00, v4
	v_add_u32_e32 v5, v2, v5
	v_cmp_ge_i32_e32 vcc, v5, v2
	s_mov_b64 s[14:15], -1
	s_and_saveexec_b64 s[12:13], vcc
	s_cbranch_execz .LBB2_34
; %bb.31:                               ;   in Loop: Header=BB2_23 Depth=1
	v_lshrrev_b32_e32 v4, 8, v4
	v_add_u32_e32 v8, 1, v4
	v_and_b32_e32 v9, 0x1fffffe, v8
	s_mov_b64 s[14:15], 0
	v_mov_b32_e32 v11, s19
	v_mov_b32_e32 v10, v9
	v_mov_b64_e32 v[4:5], v[2:3]
.LBB2_32:                               ;   Parent Loop BB2_23 Depth=1
                                        ; =>  This Inner Loop Header: Depth=2
	v_add_u32_e32 v10, -2, v10
	v_ashrrev_i32_e32 v13, 31, v5
	v_mov_b32_e32 v12, v5
	v_ashrrev_i32_e32 v15, 31, v4
	v_mov_b32_e32 v14, v4
	v_cmp_eq_u32_e32 vcc, 0, v10
	v_add_u32_e32 v5, 0x200, v5
	v_add_u32_e32 v4, 0x200, v4
	v_lshl_add_u64 v[14:15], v[14:15], 2, s[8:9]
	v_lshl_add_u64 v[12:13], v[12:13], 2, s[8:9]
	s_or_b64 s[14:15], vcc, s[14:15]
	global_store_dword v[14:15], v11, off
	global_store_dword v[12:13], v11, off
	s_andn2_b64 exec, exec, s[14:15]
	s_cbranch_execnz .LBB2_32
; %bb.33:                               ;   in Loop: Header=BB2_23 Depth=1
	s_or_b64 exec, exec, s[14:15]
	v_cmp_ne_u32_e32 vcc, v8, v9
	v_lshl_add_u32 v2, v9, 8, v2
	s_orn2_b64 s[14:15], vcc, exec
.LBB2_34:                               ;   in Loop: Header=BB2_23 Depth=1
	s_or_b64 exec, exec, s[12:13]
	s_andn2_b64 s[2:3], s[2:3], exec
	s_and_b64 s[12:13], s[14:15], exec
	s_or_b64 s[2:3], s[2:3], s[12:13]
.LBB2_35:                               ;   in Loop: Header=BB2_23 Depth=1
	s_or_b64 exec, exec, s[10:11]
	s_and_b64 exec, exec, s[2:3]
	s_cbranch_execz .LBB2_21
; %bb.36:                               ;   in Loop: Header=BB2_23 Depth=1
	s_mov_b64 s[2:3], 0
	v_mov_b32_e32 v4, s19
.LBB2_37:                               ;   Parent Loop BB2_23 Depth=1
                                        ; =>  This Inner Loop Header: Depth=2
	v_ashrrev_i32_e32 v3, 31, v2
	v_lshl_add_u64 v[8:9], v[2:3], 2, s[8:9]
	v_add_u32_e32 v2, 0x100, v2
	v_cmp_ge_i32_e32 vcc, v2, v7
	s_or_b64 s[2:3], vcc, s[2:3]
	global_store_dword v[8:9], v4, off
	s_andn2_b64 exec, exec, s[2:3]
	s_cbranch_execnz .LBB2_37
	s_branch .LBB2_21
	.section	.rodata,"a",@progbits
	.p2align	6, 0x0
	.amdhsa_kernel _ZN9rocsparseL14csr2coo_kernelILj256ELj8EiiEEvT2_PKT1_S4_PS1_21rocsparse_index_base_
		.amdhsa_group_segment_fixed_size 132
		.amdhsa_private_segment_fixed_size 0
		.amdhsa_kernarg_size 36
		.amdhsa_user_sgpr_count 2
		.amdhsa_user_sgpr_dispatch_ptr 0
		.amdhsa_user_sgpr_queue_ptr 0
		.amdhsa_user_sgpr_kernarg_segment_ptr 1
		.amdhsa_user_sgpr_dispatch_id 0
		.amdhsa_user_sgpr_kernarg_preload_length 0
		.amdhsa_user_sgpr_kernarg_preload_offset 0
		.amdhsa_user_sgpr_private_segment_size 0
		.amdhsa_uses_dynamic_stack 0
		.amdhsa_enable_private_segment 0
		.amdhsa_system_sgpr_workgroup_id_x 1
		.amdhsa_system_sgpr_workgroup_id_y 0
		.amdhsa_system_sgpr_workgroup_id_z 0
		.amdhsa_system_sgpr_workgroup_info 0
		.amdhsa_system_vgpr_workitem_id 0
		.amdhsa_next_free_vgpr 16
		.amdhsa_next_free_sgpr 23
		.amdhsa_accum_offset 16
		.amdhsa_reserve_vcc 1
		.amdhsa_float_round_mode_32 0
		.amdhsa_float_round_mode_16_64 0
		.amdhsa_float_denorm_mode_32 3
		.amdhsa_float_denorm_mode_16_64 3
		.amdhsa_dx10_clamp 1
		.amdhsa_ieee_mode 1
		.amdhsa_fp16_overflow 0
		.amdhsa_tg_split 0
		.amdhsa_exception_fp_ieee_invalid_op 0
		.amdhsa_exception_fp_denorm_src 0
		.amdhsa_exception_fp_ieee_div_zero 0
		.amdhsa_exception_fp_ieee_overflow 0
		.amdhsa_exception_fp_ieee_underflow 0
		.amdhsa_exception_fp_ieee_inexact 0
		.amdhsa_exception_int_div_zero 0
	.end_amdhsa_kernel
	.section	.text._ZN9rocsparseL14csr2coo_kernelILj256ELj8EiiEEvT2_PKT1_S4_PS1_21rocsparse_index_base_,"axG",@progbits,_ZN9rocsparseL14csr2coo_kernelILj256ELj8EiiEEvT2_PKT1_S4_PS1_21rocsparse_index_base_,comdat
.Lfunc_end2:
	.size	_ZN9rocsparseL14csr2coo_kernelILj256ELj8EiiEEvT2_PKT1_S4_PS1_21rocsparse_index_base_, .Lfunc_end2-_ZN9rocsparseL14csr2coo_kernelILj256ELj8EiiEEvT2_PKT1_S4_PS1_21rocsparse_index_base_
                                        ; -- End function
	.set _ZN9rocsparseL14csr2coo_kernelILj256ELj8EiiEEvT2_PKT1_S4_PS1_21rocsparse_index_base_.num_vgpr, 16
	.set _ZN9rocsparseL14csr2coo_kernelILj256ELj8EiiEEvT2_PKT1_S4_PS1_21rocsparse_index_base_.num_agpr, 0
	.set _ZN9rocsparseL14csr2coo_kernelILj256ELj8EiiEEvT2_PKT1_S4_PS1_21rocsparse_index_base_.numbered_sgpr, 23
	.set _ZN9rocsparseL14csr2coo_kernelILj256ELj8EiiEEvT2_PKT1_S4_PS1_21rocsparse_index_base_.num_named_barrier, 0
	.set _ZN9rocsparseL14csr2coo_kernelILj256ELj8EiiEEvT2_PKT1_S4_PS1_21rocsparse_index_base_.private_seg_size, 0
	.set _ZN9rocsparseL14csr2coo_kernelILj256ELj8EiiEEvT2_PKT1_S4_PS1_21rocsparse_index_base_.uses_vcc, 1
	.set _ZN9rocsparseL14csr2coo_kernelILj256ELj8EiiEEvT2_PKT1_S4_PS1_21rocsparse_index_base_.uses_flat_scratch, 0
	.set _ZN9rocsparseL14csr2coo_kernelILj256ELj8EiiEEvT2_PKT1_S4_PS1_21rocsparse_index_base_.has_dyn_sized_stack, 0
	.set _ZN9rocsparseL14csr2coo_kernelILj256ELj8EiiEEvT2_PKT1_S4_PS1_21rocsparse_index_base_.has_recursion, 0
	.set _ZN9rocsparseL14csr2coo_kernelILj256ELj8EiiEEvT2_PKT1_S4_PS1_21rocsparse_index_base_.has_indirect_call, 0
	.section	.AMDGPU.csdata,"",@progbits
; Kernel info:
; codeLenInByte = 1088
; TotalNumSgprs: 29
; NumVgprs: 16
; NumAgprs: 0
; TotalNumVgprs: 16
; ScratchSize: 0
; MemoryBound: 0
; FloatMode: 240
; IeeeMode: 1
; LDSByteSize: 132 bytes/workgroup (compile time only)
; SGPRBlocks: 3
; VGPRBlocks: 1
; NumSGPRsForWavesPerEU: 29
; NumVGPRsForWavesPerEU: 16
; AccumOffset: 16
; Occupancy: 8
; WaveLimiterHint : 0
; COMPUTE_PGM_RSRC2:SCRATCH_EN: 0
; COMPUTE_PGM_RSRC2:USER_SGPR: 2
; COMPUTE_PGM_RSRC2:TRAP_HANDLER: 0
; COMPUTE_PGM_RSRC2:TGID_X_EN: 1
; COMPUTE_PGM_RSRC2:TGID_Y_EN: 0
; COMPUTE_PGM_RSRC2:TGID_Z_EN: 0
; COMPUTE_PGM_RSRC2:TIDIG_COMP_CNT: 0
; COMPUTE_PGM_RSRC3_GFX90A:ACCUM_OFFSET: 3
; COMPUTE_PGM_RSRC3_GFX90A:TG_SPLIT: 0
	.section	.text._ZN9rocsparseL14csr2coo_kernelILj256ELj16EiiEEvT2_PKT1_S4_PS1_21rocsparse_index_base_,"axG",@progbits,_ZN9rocsparseL14csr2coo_kernelILj256ELj16EiiEEvT2_PKT1_S4_PS1_21rocsparse_index_base_,comdat
	.globl	_ZN9rocsparseL14csr2coo_kernelILj256ELj16EiiEEvT2_PKT1_S4_PS1_21rocsparse_index_base_ ; -- Begin function _ZN9rocsparseL14csr2coo_kernelILj256ELj16EiiEEvT2_PKT1_S4_PS1_21rocsparse_index_base_
	.p2align	8
	.type	_ZN9rocsparseL14csr2coo_kernelILj256ELj16EiiEEvT2_PKT1_S4_PS1_21rocsparse_index_base_,@function
_ZN9rocsparseL14csr2coo_kernelILj256ELj16EiiEEvT2_PKT1_S4_PS1_21rocsparse_index_base_: ; @_ZN9rocsparseL14csr2coo_kernelILj256ELj16EiiEEvT2_PKT1_S4_PS1_21rocsparse_index_base_
; %bb.0:
	s_load_dword s23, s[0:1], 0x0
	s_load_dwordx4 s[4:7], s[0:1], 0x8
	s_load_dwordx2 s[8:9], s[0:1], 0x18
	s_load_dword s22, s[0:1], 0x20
	v_lshrrev_b32_e32 v1, 4, v0
	s_lshl_b32 s2, s2, 4
	v_or_b32_e32 v4, s2, v1
	v_mov_b32_e32 v2, 1
	v_mov_b32_e32 v6, 0
	s_waitcnt lgkmcnt(0)
	v_cmp_gt_i32_e32 vcc, s23, v4
	v_ashrrev_i32_e32 v5, 31, v4
	v_mov_b32_e32 v8, 0
	ds_write_b32 v6, v2 offset:64
	s_waitcnt lgkmcnt(0)
	s_barrier
	s_and_saveexec_b64 s[0:1], vcc
	s_cbranch_execz .LBB3_2
; %bb.1:
	v_lshl_add_u64 v[2:3], v[4:5], 2, s[4:5]
	global_load_dword v2, v[2:3], off
	s_waitcnt vmcnt(0)
	v_subrev_u32_e32 v8, s22, v2
.LBB3_2:
	s_or_b64 exec, exec, s[0:1]
	s_and_saveexec_b64 s[0:1], vcc
	s_cbranch_execz .LBB3_4
; %bb.3:
	v_lshl_add_u64 v[2:3], v[4:5], 2, s[6:7]
	global_load_dword v2, v[2:3], off
	s_waitcnt vmcnt(0)
	v_subrev_u32_e32 v6, s22, v2
.LBB3_4:
	s_or_b64 exec, exec, s[0:1]
	v_sub_u32_e32 v2, v6, v8
	s_movk_i32 s0, 0x81
	v_cmp_gt_u32_e32 vcc, s0, v2
	s_movk_i32 s0, 0x80
	v_cmp_lt_u32_e64 s[0:1], s0, v2
	s_and_saveexec_b64 s[10:11], s[0:1]
	s_xor_b64 s[0:1], exec, s[10:11]
; %bb.5:
	v_mov_b32_e32 v2, 0
	ds_write_b32 v2, v2 offset:64
                                        ; implicit-def: $vgpr8
                                        ; implicit-def: $vgpr6
                                        ; implicit-def: $vgpr4
; %bb.6:
	s_andn2_saveexec_b64 s[10:11], s[0:1]
	s_cbranch_execz .LBB3_18
; %bb.7:
	v_and_b32_e32 v5, 15, v0
	v_add_u32_e32 v2, v8, v5
	v_cmp_lt_i32_e64 s[0:1], v2, v6
	s_and_saveexec_b64 s[12:13], s[0:1]
	s_cbranch_execz .LBB3_17
; %bb.8:
	v_add_u32_e32 v3, 16, v2
	v_add_u32_e32 v7, s22, v4
	v_max_i32_e32 v4, v6, v3
	v_xad_u32 v4, v8, -1, v4
	v_sub_u32_e32 v4, v4, v5
	s_movk_i32 s0, 0x1b0
	v_cmp_gt_u32_e64 s[14:15], s0, v4
	s_movk_i32 s0, 0x1af
	v_cmp_lt_u32_e64 s[0:1], s0, v4
	s_and_saveexec_b64 s[16:17], s[0:1]
	s_cbranch_execz .LBB3_14
; %bb.9:
	v_and_b32_e32 v5, -16, v4
	v_add_u32_e32 v5, v2, v5
	v_cmp_ge_i32_e64 s[0:1], v5, v2
	s_mov_b64 s[20:21], -1
	s_and_saveexec_b64 s[18:19], s[0:1]
	s_cbranch_execz .LBB3_13
; %bb.10:
	v_lshrrev_b32_e32 v4, 4, v4
	v_add_u32_e32 v8, 1, v4
	v_and_b32_e32 v9, 0x1ffffffe, v8
	s_mov_b64 s[20:21], 0
	v_mov_b32_e32 v10, v9
	v_mov_b64_e32 v[4:5], v[2:3]
.LBB3_11:                               ; =>This Inner Loop Header: Depth=1
	v_add_u32_e32 v10, -2, v10
	v_ashrrev_i32_e32 v13, 31, v5
	v_mov_b32_e32 v12, v5
	v_ashrrev_i32_e32 v15, 31, v4
	v_mov_b32_e32 v14, v4
	v_cmp_eq_u32_e64 s[0:1], 0, v10
	v_add_u32_e32 v5, 32, v5
	v_add_u32_e32 v4, 32, v4
	v_lshl_add_u64 v[14:15], v[14:15], 2, s[8:9]
	v_lshl_add_u64 v[12:13], v[12:13], 2, s[8:9]
	s_or_b64 s[20:21], s[0:1], s[20:21]
	global_store_dword v[14:15], v7, off
	global_store_dword v[12:13], v7, off
	s_andn2_b64 exec, exec, s[20:21]
	s_cbranch_execnz .LBB3_11
; %bb.12:
	s_or_b64 exec, exec, s[20:21]
	v_cmp_ne_u32_e64 s[0:1], v8, v9
	v_lshl_add_u32 v2, v9, 4, v2
	s_orn2_b64 s[20:21], s[0:1], exec
.LBB3_13:
	s_or_b64 exec, exec, s[18:19]
	s_andn2_b64 s[0:1], s[14:15], exec
	s_and_b64 s[14:15], s[20:21], exec
	s_or_b64 s[14:15], s[0:1], s[14:15]
.LBB3_14:
	s_or_b64 exec, exec, s[16:17]
	s_and_b64 exec, exec, s[14:15]
	s_cbranch_execz .LBB3_17
; %bb.15:
	s_mov_b64 s[14:15], 0
.LBB3_16:                               ; =>This Inner Loop Header: Depth=1
	v_ashrrev_i32_e32 v3, 31, v2
	v_lshl_add_u64 v[4:5], v[2:3], 2, s[8:9]
	v_add_u32_e32 v2, 16, v2
	v_cmp_ge_i32_e64 s[0:1], v2, v6
	s_or_b64 s[14:15], s[0:1], s[14:15]
	global_store_dword v[4:5], v7, off
	s_andn2_b64 exec, exec, s[14:15]
	s_cbranch_execnz .LBB3_16
.LBB3_17:
	s_or_b64 exec, exec, s[12:13]
.LBB3_18:
	s_or_b64 exec, exec, s[10:11]
	v_cndmask_b32_e64 v2, 0, 1, vcc
	v_lshlrev_b32_e32 v1, 2, v1
	ds_write_b32 v1, v2
	v_mov_b32_e32 v1, 0
	s_waitcnt lgkmcnt(0)
	s_barrier
	ds_read_b32 v2, v1 offset:64
	s_waitcnt lgkmcnt(0)
	v_cmp_ne_u32_e32 vcc, 0, v2
	s_cbranch_vccnz .LBB3_274
; %bb.19:
	ds_read_b32 v1, v1
	s_waitcnt lgkmcnt(0)
	v_cmp_ne_u32_e32 vcc, 0, v1
	s_cbranch_vccnz .LBB3_35
; %bb.20:
	s_cmp_lt_i32 s2, s23
	s_cselect_b64 s[0:1], -1, 0
	s_cmp_ge_i32 s2, s23
	v_mov_b32_e32 v1, 0
	v_mov_b32_e32 v3, 0
	s_cbranch_scc0 .LBB3_23
; %bb.21:
	s_andn2_b64 vcc, exec, s[0:1]
	s_cbranch_vccz .LBB3_24
.LBB3_22:
	v_add_u32_e32 v2, v3, v0
	v_cmp_lt_i32_e32 vcc, v2, v1
	s_and_saveexec_b64 s[0:1], vcc
	s_cbranch_execnz .LBB3_25
	s_branch .LBB3_34
.LBB3_23:
	s_ashr_i32 s3, s2, 31
	s_lshl_b64 s[10:11], s[2:3], 2
	s_add_u32 s10, s4, s10
	s_addc_u32 s11, s5, s11
	v_mov_b32_e32 v2, 0
	global_load_dword v2, v2, s[10:11]
	s_waitcnt vmcnt(0)
	v_subrev_u32_e32 v3, s22, v2
	s_andn2_b64 vcc, exec, s[0:1]
	s_cbranch_vccnz .LBB3_22
.LBB3_24:
	s_ashr_i32 s3, s2, 31
	s_lshl_b64 s[0:1], s[2:3], 2
	s_add_u32 s0, s6, s0
	s_addc_u32 s1, s7, s1
	v_mov_b32_e32 v1, 0
	global_load_dword v1, v1, s[0:1]
	s_waitcnt vmcnt(0)
	v_subrev_u32_e32 v1, s22, v1
	v_add_u32_e32 v2, v3, v0
	v_cmp_lt_i32_e32 vcc, v2, v1
	s_and_saveexec_b64 s[0:1], vcc
	s_cbranch_execz .LBB3_34
.LBB3_25:
	v_add_u32_e32 v4, 0x100, v2
	v_max_i32_e32 v4, v1, v4
	v_xad_u32 v4, v0, -1, v4
	v_sub_u32_e32 v3, v4, v3
	s_movk_i32 s10, 0x1b00
	s_movk_i32 s12, 0x1aff
	s_add_i32 s3, s2, s22
	v_cmp_gt_u32_e64 s[10:11], s10, v3
	v_cmp_lt_u32_e32 vcc, s12, v3
	s_and_saveexec_b64 s[12:13], vcc
	s_cbranch_execz .LBB3_31
; %bb.26:
	v_and_b32_e32 v4, 0xffffff00, v3
	v_add_u32_e32 v4, v2, v4
	v_cmp_ge_i32_e32 vcc, v4, v2
	s_mov_b64 s[16:17], -1
	s_and_saveexec_b64 s[14:15], vcc
	s_cbranch_execz .LBB3_30
; %bb.27:
	v_lshrrev_b32_e32 v3, 8, v3
	v_add_u32_e32 v6, 1, v3
	v_and_b32_e32 v7, 0x1fffffe, v6
	v_add_u32_e32 v3, 0x100, v2
	s_mov_b64 s[16:17], 0
	v_mov_b32_e32 v9, s3
	v_mov_b32_e32 v8, v7
	v_mov_b64_e32 v[4:5], v[2:3]
.LBB3_28:                               ; =>This Inner Loop Header: Depth=1
	v_add_u32_e32 v8, -2, v8
	v_ashrrev_i32_e32 v11, 31, v5
	v_mov_b32_e32 v10, v5
	v_ashrrev_i32_e32 v13, 31, v4
	v_mov_b32_e32 v12, v4
	v_cmp_eq_u32_e32 vcc, 0, v8
	v_add_u32_e32 v5, 0x200, v5
	v_add_u32_e32 v4, 0x200, v4
	v_lshl_add_u64 v[12:13], v[12:13], 2, s[8:9]
	v_lshl_add_u64 v[10:11], v[10:11], 2, s[8:9]
	s_or_b64 s[16:17], vcc, s[16:17]
	global_store_dword v[12:13], v9, off
	global_store_dword v[10:11], v9, off
	s_andn2_b64 exec, exec, s[16:17]
	s_cbranch_execnz .LBB3_28
; %bb.29:
	s_or_b64 exec, exec, s[16:17]
	v_cmp_ne_u32_e32 vcc, v6, v7
	v_lshl_add_u32 v2, v7, 8, v2
	s_orn2_b64 s[16:17], vcc, exec
.LBB3_30:
	s_or_b64 exec, exec, s[14:15]
	s_andn2_b64 s[10:11], s[10:11], exec
	s_and_b64 s[14:15], s[16:17], exec
	s_or_b64 s[10:11], s[10:11], s[14:15]
.LBB3_31:
	s_or_b64 exec, exec, s[12:13]
	s_and_b64 exec, exec, s[10:11]
	s_cbranch_execz .LBB3_34
; %bb.32:
	s_mov_b64 s[10:11], 0
	v_mov_b32_e32 v4, s3
.LBB3_33:                               ; =>This Inner Loop Header: Depth=1
	v_ashrrev_i32_e32 v3, 31, v2
	v_lshl_add_u64 v[6:7], v[2:3], 2, s[8:9]
	v_add_u32_e32 v2, 0x100, v2
	v_cmp_ge_i32_e32 vcc, v2, v1
	s_or_b64 s[10:11], vcc, s[10:11]
	global_store_dword v[6:7], v4, off
	s_andn2_b64 exec, exec, s[10:11]
	s_cbranch_execnz .LBB3_33
.LBB3_34:
	s_or_b64 exec, exec, s[0:1]
.LBB3_35:
	v_mov_b32_e32 v1, 0
	ds_read_b32 v2, v1 offset:4
	s_waitcnt lgkmcnt(0)
	v_cmp_ne_u32_e32 vcc, 0, v2
	s_cbranch_vccz .LBB3_37
; %bb.36:
	ds_read_b32 v1, v1 offset:8
	s_waitcnt lgkmcnt(0)
	v_cmp_ne_u32_e32 vcc, 0, v1
	s_cbranch_vccnz .LBB3_67
	s_branch .LBB3_52
.LBB3_37:
	s_or_b32 s10, s2, 1
	s_cmp_lt_i32 s10, s23
	s_cselect_b64 s[0:1], -1, 0
	s_cmp_ge_i32 s10, s23
	v_mov_b32_e32 v3, 0
	s_cbranch_scc0 .LBB3_40
; %bb.38:
	s_andn2_b64 vcc, exec, s[0:1]
	v_mov_b32_e32 v6, 0
	s_cbranch_vccz .LBB3_41
.LBB3_39:
	v_add_u32_e32 v2, v3, v0
	v_cmp_lt_i32_e32 vcc, v2, v6
	s_and_saveexec_b64 s[0:1], vcc
	s_cbranch_execnz .LBB3_42
	s_branch .LBB3_51
.LBB3_40:
	s_ashr_i32 s3, s2, 31
	s_lshl_b64 s[12:13], s[2:3], 2
	s_add_u32 s12, s4, s12
	s_addc_u32 s13, s5, s13
	v_mov_b32_e32 v2, 0
	global_load_dword v2, v2, s[12:13] offset:4
	s_waitcnt vmcnt(0)
	v_subrev_u32_e32 v3, s22, v2
	s_andn2_b64 vcc, exec, s[0:1]
	v_mov_b32_e32 v6, 0
	s_cbranch_vccnz .LBB3_39
.LBB3_41:
	s_ashr_i32 s3, s2, 31
	s_lshl_b64 s[0:1], s[2:3], 2
	s_add_u32 s0, s6, s0
	s_addc_u32 s1, s7, s1
	v_mov_b32_e32 v2, 0
	global_load_dword v2, v2, s[0:1] offset:4
	s_waitcnt vmcnt(0)
	v_subrev_u32_e32 v6, s22, v2
	v_add_u32_e32 v2, v3, v0
	v_cmp_lt_i32_e32 vcc, v2, v6
	s_and_saveexec_b64 s[0:1], vcc
	s_cbranch_execz .LBB3_51
.LBB3_42:
	v_add_u32_e32 v4, 0x100, v2
	v_max_i32_e32 v4, v6, v4
	v_xad_u32 v4, v0, -1, v4
	s_add_i32 s3, s10, s22
	v_sub_u32_e32 v3, v4, v3
	s_movk_i32 s10, 0x1b00
	s_movk_i32 s12, 0x1aff
	v_cmp_gt_u32_e64 s[10:11], s10, v3
	v_cmp_lt_u32_e32 vcc, s12, v3
	s_and_saveexec_b64 s[12:13], vcc
	s_cbranch_execz .LBB3_48
; %bb.43:
	v_and_b32_e32 v4, 0xffffff00, v3
	v_add_u32_e32 v4, v2, v4
	v_cmp_ge_i32_e32 vcc, v4, v2
	s_mov_b64 s[16:17], -1
	s_and_saveexec_b64 s[14:15], vcc
	s_cbranch_execz .LBB3_47
; %bb.44:
	v_lshrrev_b32_e32 v3, 8, v3
	v_add_u32_e32 v7, 1, v3
	v_and_b32_e32 v8, 0x1fffffe, v7
	v_add_u32_e32 v3, 0x100, v2
	s_mov_b64 s[16:17], 0
	v_mov_b32_e32 v10, s3
	v_mov_b32_e32 v9, v8
	v_mov_b64_e32 v[4:5], v[2:3]
.LBB3_45:                               ; =>This Inner Loop Header: Depth=1
	v_add_u32_e32 v9, -2, v9
	v_ashrrev_i32_e32 v13, 31, v5
	v_mov_b32_e32 v12, v5
	v_ashrrev_i32_e32 v15, 31, v4
	v_mov_b32_e32 v14, v4
	v_cmp_eq_u32_e32 vcc, 0, v9
	v_add_u32_e32 v5, 0x200, v5
	v_add_u32_e32 v4, 0x200, v4
	v_lshl_add_u64 v[14:15], v[14:15], 2, s[8:9]
	v_lshl_add_u64 v[12:13], v[12:13], 2, s[8:9]
	s_or_b64 s[16:17], vcc, s[16:17]
	global_store_dword v[14:15], v10, off
	global_store_dword v[12:13], v10, off
	s_andn2_b64 exec, exec, s[16:17]
	s_cbranch_execnz .LBB3_45
; %bb.46:
	s_or_b64 exec, exec, s[16:17]
	v_cmp_ne_u32_e32 vcc, v7, v8
	v_lshl_add_u32 v2, v8, 8, v2
	s_orn2_b64 s[16:17], vcc, exec
.LBB3_47:
	s_or_b64 exec, exec, s[14:15]
	s_andn2_b64 s[10:11], s[10:11], exec
	s_and_b64 s[14:15], s[16:17], exec
	s_or_b64 s[10:11], s[10:11], s[14:15]
.LBB3_48:
	s_or_b64 exec, exec, s[12:13]
	s_and_b64 exec, exec, s[10:11]
	s_cbranch_execz .LBB3_51
; %bb.49:
	s_mov_b64 s[10:11], 0
	v_mov_b32_e32 v4, s3
.LBB3_50:                               ; =>This Inner Loop Header: Depth=1
	v_ashrrev_i32_e32 v3, 31, v2
	v_lshl_add_u64 v[8:9], v[2:3], 2, s[8:9]
	v_add_u32_e32 v2, 0x100, v2
	v_cmp_ge_i32_e32 vcc, v2, v6
	s_or_b64 s[10:11], vcc, s[10:11]
	global_store_dword v[8:9], v4, off
	s_andn2_b64 exec, exec, s[10:11]
	s_cbranch_execnz .LBB3_50
.LBB3_51:
	s_or_b64 exec, exec, s[0:1]
	ds_read_b32 v1, v1 offset:8
	s_waitcnt lgkmcnt(0)
	v_cmp_ne_u32_e32 vcc, 0, v1
	s_cbranch_vccnz .LBB3_67
.LBB3_52:
	s_or_b32 s10, s2, 2
	s_cmp_lt_i32 s10, s23
	s_cselect_b64 s[0:1], -1, 0
	s_cmp_ge_i32 s10, s23
	v_mov_b32_e32 v1, 0
	v_mov_b32_e32 v3, 0
	s_cbranch_scc0 .LBB3_55
; %bb.53:
	s_andn2_b64 vcc, exec, s[0:1]
	s_cbranch_vccz .LBB3_56
.LBB3_54:
	v_add_u32_e32 v2, v3, v0
	v_cmp_lt_i32_e32 vcc, v2, v1
	s_and_saveexec_b64 s[0:1], vcc
	s_cbranch_execnz .LBB3_57
	s_branch .LBB3_66
.LBB3_55:
	s_ashr_i32 s3, s2, 31
	s_lshl_b64 s[12:13], s[2:3], 2
	s_add_u32 s12, s4, s12
	s_addc_u32 s13, s5, s13
	v_mov_b32_e32 v2, 0
	global_load_dword v2, v2, s[12:13] offset:8
	s_waitcnt vmcnt(0)
	v_subrev_u32_e32 v3, s22, v2
	s_andn2_b64 vcc, exec, s[0:1]
	s_cbranch_vccnz .LBB3_54
.LBB3_56:
	s_ashr_i32 s3, s2, 31
	s_lshl_b64 s[0:1], s[2:3], 2
	s_add_u32 s0, s6, s0
	s_addc_u32 s1, s7, s1
	v_mov_b32_e32 v1, 0
	global_load_dword v1, v1, s[0:1] offset:8
	s_waitcnt vmcnt(0)
	v_subrev_u32_e32 v1, s22, v1
	v_add_u32_e32 v2, v3, v0
	v_cmp_lt_i32_e32 vcc, v2, v1
	s_and_saveexec_b64 s[0:1], vcc
	s_cbranch_execz .LBB3_66
.LBB3_57:
	v_add_u32_e32 v4, 0x100, v2
	v_max_i32_e32 v4, v1, v4
	v_xad_u32 v4, v0, -1, v4
	s_add_i32 s3, s10, s22
	v_sub_u32_e32 v3, v4, v3
	s_movk_i32 s10, 0x1b00
	s_movk_i32 s12, 0x1aff
	v_cmp_gt_u32_e64 s[10:11], s10, v3
	v_cmp_lt_u32_e32 vcc, s12, v3
	s_and_saveexec_b64 s[12:13], vcc
	s_cbranch_execz .LBB3_63
; %bb.58:
	v_and_b32_e32 v4, 0xffffff00, v3
	v_add_u32_e32 v4, v2, v4
	v_cmp_ge_i32_e32 vcc, v4, v2
	s_mov_b64 s[16:17], -1
	s_and_saveexec_b64 s[14:15], vcc
	s_cbranch_execz .LBB3_62
; %bb.59:
	v_lshrrev_b32_e32 v3, 8, v3
	v_add_u32_e32 v6, 1, v3
	v_and_b32_e32 v7, 0x1fffffe, v6
	v_add_u32_e32 v3, 0x100, v2
	s_mov_b64 s[16:17], 0
	v_mov_b32_e32 v9, s3
	v_mov_b32_e32 v8, v7
	v_mov_b64_e32 v[4:5], v[2:3]
.LBB3_60:                               ; =>This Inner Loop Header: Depth=1
	v_add_u32_e32 v8, -2, v8
	v_ashrrev_i32_e32 v11, 31, v5
	v_mov_b32_e32 v10, v5
	v_ashrrev_i32_e32 v13, 31, v4
	v_mov_b32_e32 v12, v4
	v_cmp_eq_u32_e32 vcc, 0, v8
	v_add_u32_e32 v5, 0x200, v5
	v_add_u32_e32 v4, 0x200, v4
	v_lshl_add_u64 v[12:13], v[12:13], 2, s[8:9]
	v_lshl_add_u64 v[10:11], v[10:11], 2, s[8:9]
	s_or_b64 s[16:17], vcc, s[16:17]
	global_store_dword v[12:13], v9, off
	global_store_dword v[10:11], v9, off
	s_andn2_b64 exec, exec, s[16:17]
	s_cbranch_execnz .LBB3_60
; %bb.61:
	s_or_b64 exec, exec, s[16:17]
	v_cmp_ne_u32_e32 vcc, v6, v7
	v_lshl_add_u32 v2, v7, 8, v2
	s_orn2_b64 s[16:17], vcc, exec
.LBB3_62:
	s_or_b64 exec, exec, s[14:15]
	s_andn2_b64 s[10:11], s[10:11], exec
	s_and_b64 s[14:15], s[16:17], exec
	s_or_b64 s[10:11], s[10:11], s[14:15]
.LBB3_63:
	s_or_b64 exec, exec, s[12:13]
	s_and_b64 exec, exec, s[10:11]
	s_cbranch_execz .LBB3_66
; %bb.64:
	s_mov_b64 s[10:11], 0
	v_mov_b32_e32 v4, s3
.LBB3_65:                               ; =>This Inner Loop Header: Depth=1
	v_ashrrev_i32_e32 v3, 31, v2
	v_lshl_add_u64 v[6:7], v[2:3], 2, s[8:9]
	v_add_u32_e32 v2, 0x100, v2
	v_cmp_ge_i32_e32 vcc, v2, v1
	s_or_b64 s[10:11], vcc, s[10:11]
	global_store_dword v[6:7], v4, off
	s_andn2_b64 exec, exec, s[10:11]
	s_cbranch_execnz .LBB3_65
.LBB3_66:
	s_or_b64 exec, exec, s[0:1]
.LBB3_67:
	v_mov_b32_e32 v1, 0
	ds_read_b32 v2, v1 offset:12
	s_waitcnt lgkmcnt(0)
	v_cmp_ne_u32_e32 vcc, 0, v2
	s_cbranch_vccz .LBB3_69
; %bb.68:
	ds_read_b32 v1, v1 offset:16
	s_waitcnt lgkmcnt(0)
	v_cmp_ne_u32_e32 vcc, 0, v1
	s_cbranch_vccnz .LBB3_99
	s_branch .LBB3_84
.LBB3_69:
	s_or_b32 s10, s2, 3
	s_cmp_lt_i32 s10, s23
	s_cselect_b64 s[0:1], -1, 0
	s_cmp_ge_i32 s10, s23
	v_mov_b32_e32 v3, 0
	s_cbranch_scc0 .LBB3_72
; %bb.70:
	s_andn2_b64 vcc, exec, s[0:1]
	v_mov_b32_e32 v6, 0
	s_cbranch_vccz .LBB3_73
.LBB3_71:
	v_add_u32_e32 v2, v3, v0
	v_cmp_lt_i32_e32 vcc, v2, v6
	s_and_saveexec_b64 s[0:1], vcc
	s_cbranch_execnz .LBB3_74
	s_branch .LBB3_83
.LBB3_72:
	s_ashr_i32 s3, s2, 31
	s_lshl_b64 s[12:13], s[2:3], 2
	s_add_u32 s12, s4, s12
	s_addc_u32 s13, s5, s13
	v_mov_b32_e32 v2, 0
	global_load_dword v2, v2, s[12:13] offset:12
	s_waitcnt vmcnt(0)
	v_subrev_u32_e32 v3, s22, v2
	s_andn2_b64 vcc, exec, s[0:1]
	v_mov_b32_e32 v6, 0
	s_cbranch_vccnz .LBB3_71
.LBB3_73:
	s_ashr_i32 s3, s2, 31
	s_lshl_b64 s[0:1], s[2:3], 2
	s_add_u32 s0, s6, s0
	s_addc_u32 s1, s7, s1
	v_mov_b32_e32 v2, 0
	global_load_dword v2, v2, s[0:1] offset:12
	s_waitcnt vmcnt(0)
	v_subrev_u32_e32 v6, s22, v2
	v_add_u32_e32 v2, v3, v0
	v_cmp_lt_i32_e32 vcc, v2, v6
	s_and_saveexec_b64 s[0:1], vcc
	s_cbranch_execz .LBB3_83
.LBB3_74:
	v_add_u32_e32 v4, 0x100, v2
	v_max_i32_e32 v4, v6, v4
	v_xad_u32 v4, v0, -1, v4
	s_add_i32 s3, s10, s22
	v_sub_u32_e32 v3, v4, v3
	s_movk_i32 s10, 0x1b00
	s_movk_i32 s12, 0x1aff
	v_cmp_gt_u32_e64 s[10:11], s10, v3
	v_cmp_lt_u32_e32 vcc, s12, v3
	s_and_saveexec_b64 s[12:13], vcc
	s_cbranch_execz .LBB3_80
; %bb.75:
	v_and_b32_e32 v4, 0xffffff00, v3
	v_add_u32_e32 v4, v2, v4
	v_cmp_ge_i32_e32 vcc, v4, v2
	s_mov_b64 s[16:17], -1
	s_and_saveexec_b64 s[14:15], vcc
	s_cbranch_execz .LBB3_79
; %bb.76:
	v_lshrrev_b32_e32 v3, 8, v3
	v_add_u32_e32 v7, 1, v3
	v_and_b32_e32 v8, 0x1fffffe, v7
	v_add_u32_e32 v3, 0x100, v2
	s_mov_b64 s[16:17], 0
	v_mov_b32_e32 v10, s3
	v_mov_b32_e32 v9, v8
	v_mov_b64_e32 v[4:5], v[2:3]
.LBB3_77:                               ; =>This Inner Loop Header: Depth=1
	v_add_u32_e32 v9, -2, v9
	v_ashrrev_i32_e32 v13, 31, v5
	v_mov_b32_e32 v12, v5
	v_ashrrev_i32_e32 v15, 31, v4
	v_mov_b32_e32 v14, v4
	v_cmp_eq_u32_e32 vcc, 0, v9
	v_add_u32_e32 v5, 0x200, v5
	v_add_u32_e32 v4, 0x200, v4
	v_lshl_add_u64 v[14:15], v[14:15], 2, s[8:9]
	v_lshl_add_u64 v[12:13], v[12:13], 2, s[8:9]
	s_or_b64 s[16:17], vcc, s[16:17]
	global_store_dword v[14:15], v10, off
	global_store_dword v[12:13], v10, off
	s_andn2_b64 exec, exec, s[16:17]
	s_cbranch_execnz .LBB3_77
; %bb.78:
	s_or_b64 exec, exec, s[16:17]
	v_cmp_ne_u32_e32 vcc, v7, v8
	v_lshl_add_u32 v2, v8, 8, v2
	s_orn2_b64 s[16:17], vcc, exec
.LBB3_79:
	s_or_b64 exec, exec, s[14:15]
	s_andn2_b64 s[10:11], s[10:11], exec
	s_and_b64 s[14:15], s[16:17], exec
	s_or_b64 s[10:11], s[10:11], s[14:15]
.LBB3_80:
	s_or_b64 exec, exec, s[12:13]
	s_and_b64 exec, exec, s[10:11]
	s_cbranch_execz .LBB3_83
; %bb.81:
	s_mov_b64 s[10:11], 0
	v_mov_b32_e32 v4, s3
.LBB3_82:                               ; =>This Inner Loop Header: Depth=1
	v_ashrrev_i32_e32 v3, 31, v2
	v_lshl_add_u64 v[8:9], v[2:3], 2, s[8:9]
	v_add_u32_e32 v2, 0x100, v2
	v_cmp_ge_i32_e32 vcc, v2, v6
	s_or_b64 s[10:11], vcc, s[10:11]
	global_store_dword v[8:9], v4, off
	s_andn2_b64 exec, exec, s[10:11]
	s_cbranch_execnz .LBB3_82
.LBB3_83:
	s_or_b64 exec, exec, s[0:1]
	ds_read_b32 v1, v1 offset:16
	s_waitcnt lgkmcnt(0)
	v_cmp_ne_u32_e32 vcc, 0, v1
	s_cbranch_vccnz .LBB3_99
.LBB3_84:
	s_or_b32 s10, s2, 4
	s_cmp_lt_i32 s10, s23
	s_cselect_b64 s[0:1], -1, 0
	s_cmp_ge_i32 s10, s23
	v_mov_b32_e32 v1, 0
	v_mov_b32_e32 v3, 0
	s_cbranch_scc0 .LBB3_87
; %bb.85:
	s_andn2_b64 vcc, exec, s[0:1]
	s_cbranch_vccz .LBB3_88
.LBB3_86:
	v_add_u32_e32 v2, v3, v0
	v_cmp_lt_i32_e32 vcc, v2, v1
	s_and_saveexec_b64 s[0:1], vcc
	s_cbranch_execnz .LBB3_89
	s_branch .LBB3_98
.LBB3_87:
	s_ashr_i32 s3, s2, 31
	s_lshl_b64 s[12:13], s[2:3], 2
	s_add_u32 s12, s4, s12
	s_addc_u32 s13, s5, s13
	v_mov_b32_e32 v2, 0
	global_load_dword v2, v2, s[12:13] offset:16
	s_waitcnt vmcnt(0)
	v_subrev_u32_e32 v3, s22, v2
	s_andn2_b64 vcc, exec, s[0:1]
	s_cbranch_vccnz .LBB3_86
.LBB3_88:
	s_ashr_i32 s3, s2, 31
	s_lshl_b64 s[0:1], s[2:3], 2
	s_add_u32 s0, s6, s0
	s_addc_u32 s1, s7, s1
	v_mov_b32_e32 v1, 0
	global_load_dword v1, v1, s[0:1] offset:16
	s_waitcnt vmcnt(0)
	v_subrev_u32_e32 v1, s22, v1
	v_add_u32_e32 v2, v3, v0
	v_cmp_lt_i32_e32 vcc, v2, v1
	s_and_saveexec_b64 s[0:1], vcc
	s_cbranch_execz .LBB3_98
.LBB3_89:
	v_add_u32_e32 v4, 0x100, v2
	v_max_i32_e32 v4, v1, v4
	v_xad_u32 v4, v0, -1, v4
	s_add_i32 s3, s10, s22
	v_sub_u32_e32 v3, v4, v3
	s_movk_i32 s10, 0x1b00
	s_movk_i32 s12, 0x1aff
	v_cmp_gt_u32_e64 s[10:11], s10, v3
	v_cmp_lt_u32_e32 vcc, s12, v3
	s_and_saveexec_b64 s[12:13], vcc
	s_cbranch_execz .LBB3_95
; %bb.90:
	v_and_b32_e32 v4, 0xffffff00, v3
	v_add_u32_e32 v4, v2, v4
	v_cmp_ge_i32_e32 vcc, v4, v2
	s_mov_b64 s[16:17], -1
	s_and_saveexec_b64 s[14:15], vcc
	s_cbranch_execz .LBB3_94
; %bb.91:
	v_lshrrev_b32_e32 v3, 8, v3
	v_add_u32_e32 v6, 1, v3
	v_and_b32_e32 v7, 0x1fffffe, v6
	v_add_u32_e32 v3, 0x100, v2
	s_mov_b64 s[16:17], 0
	v_mov_b32_e32 v9, s3
	v_mov_b32_e32 v8, v7
	v_mov_b64_e32 v[4:5], v[2:3]
.LBB3_92:                               ; =>This Inner Loop Header: Depth=1
	v_add_u32_e32 v8, -2, v8
	v_ashrrev_i32_e32 v11, 31, v5
	v_mov_b32_e32 v10, v5
	v_ashrrev_i32_e32 v13, 31, v4
	v_mov_b32_e32 v12, v4
	v_cmp_eq_u32_e32 vcc, 0, v8
	v_add_u32_e32 v5, 0x200, v5
	v_add_u32_e32 v4, 0x200, v4
	v_lshl_add_u64 v[12:13], v[12:13], 2, s[8:9]
	v_lshl_add_u64 v[10:11], v[10:11], 2, s[8:9]
	s_or_b64 s[16:17], vcc, s[16:17]
	global_store_dword v[12:13], v9, off
	global_store_dword v[10:11], v9, off
	s_andn2_b64 exec, exec, s[16:17]
	s_cbranch_execnz .LBB3_92
; %bb.93:
	s_or_b64 exec, exec, s[16:17]
	v_cmp_ne_u32_e32 vcc, v6, v7
	v_lshl_add_u32 v2, v7, 8, v2
	s_orn2_b64 s[16:17], vcc, exec
.LBB3_94:
	s_or_b64 exec, exec, s[14:15]
	s_andn2_b64 s[10:11], s[10:11], exec
	s_and_b64 s[14:15], s[16:17], exec
	s_or_b64 s[10:11], s[10:11], s[14:15]
.LBB3_95:
	s_or_b64 exec, exec, s[12:13]
	s_and_b64 exec, exec, s[10:11]
	s_cbranch_execz .LBB3_98
; %bb.96:
	s_mov_b64 s[10:11], 0
	v_mov_b32_e32 v4, s3
.LBB3_97:                               ; =>This Inner Loop Header: Depth=1
	v_ashrrev_i32_e32 v3, 31, v2
	v_lshl_add_u64 v[6:7], v[2:3], 2, s[8:9]
	v_add_u32_e32 v2, 0x100, v2
	v_cmp_ge_i32_e32 vcc, v2, v1
	s_or_b64 s[10:11], vcc, s[10:11]
	global_store_dword v[6:7], v4, off
	s_andn2_b64 exec, exec, s[10:11]
	s_cbranch_execnz .LBB3_97
.LBB3_98:
	s_or_b64 exec, exec, s[0:1]
.LBB3_99:
	v_mov_b32_e32 v1, 0
	ds_read_b32 v2, v1 offset:20
	s_waitcnt lgkmcnt(0)
	v_cmp_ne_u32_e32 vcc, 0, v2
	s_cbranch_vccz .LBB3_101
; %bb.100:
	ds_read_b32 v1, v1 offset:24
	s_waitcnt lgkmcnt(0)
	v_cmp_ne_u32_e32 vcc, 0, v1
	s_cbranch_vccnz .LBB3_131
	s_branch .LBB3_116
.LBB3_101:
	s_or_b32 s10, s2, 5
	s_cmp_lt_i32 s10, s23
	s_cselect_b64 s[0:1], -1, 0
	s_cmp_ge_i32 s10, s23
	v_mov_b32_e32 v3, 0
	s_cbranch_scc0 .LBB3_104
; %bb.102:
	s_andn2_b64 vcc, exec, s[0:1]
	v_mov_b32_e32 v6, 0
	s_cbranch_vccz .LBB3_105
.LBB3_103:
	v_add_u32_e32 v2, v3, v0
	v_cmp_lt_i32_e32 vcc, v2, v6
	s_and_saveexec_b64 s[0:1], vcc
	s_cbranch_execnz .LBB3_106
	s_branch .LBB3_115
.LBB3_104:
	s_ashr_i32 s3, s2, 31
	s_lshl_b64 s[12:13], s[2:3], 2
	s_add_u32 s12, s4, s12
	s_addc_u32 s13, s5, s13
	v_mov_b32_e32 v2, 0
	global_load_dword v2, v2, s[12:13] offset:20
	s_waitcnt vmcnt(0)
	v_subrev_u32_e32 v3, s22, v2
	s_andn2_b64 vcc, exec, s[0:1]
	v_mov_b32_e32 v6, 0
	s_cbranch_vccnz .LBB3_103
.LBB3_105:
	s_ashr_i32 s3, s2, 31
	s_lshl_b64 s[0:1], s[2:3], 2
	s_add_u32 s0, s6, s0
	s_addc_u32 s1, s7, s1
	v_mov_b32_e32 v2, 0
	global_load_dword v2, v2, s[0:1] offset:20
	s_waitcnt vmcnt(0)
	v_subrev_u32_e32 v6, s22, v2
	v_add_u32_e32 v2, v3, v0
	v_cmp_lt_i32_e32 vcc, v2, v6
	s_and_saveexec_b64 s[0:1], vcc
	s_cbranch_execz .LBB3_115
.LBB3_106:
	v_add_u32_e32 v4, 0x100, v2
	v_max_i32_e32 v4, v6, v4
	v_xad_u32 v4, v0, -1, v4
	s_add_i32 s3, s10, s22
	v_sub_u32_e32 v3, v4, v3
	s_movk_i32 s10, 0x1b00
	s_movk_i32 s12, 0x1aff
	v_cmp_gt_u32_e64 s[10:11], s10, v3
	v_cmp_lt_u32_e32 vcc, s12, v3
	s_and_saveexec_b64 s[12:13], vcc
	s_cbranch_execz .LBB3_112
; %bb.107:
	v_and_b32_e32 v4, 0xffffff00, v3
	v_add_u32_e32 v4, v2, v4
	v_cmp_ge_i32_e32 vcc, v4, v2
	s_mov_b64 s[16:17], -1
	s_and_saveexec_b64 s[14:15], vcc
	s_cbranch_execz .LBB3_111
; %bb.108:
	v_lshrrev_b32_e32 v3, 8, v3
	v_add_u32_e32 v7, 1, v3
	v_and_b32_e32 v8, 0x1fffffe, v7
	v_add_u32_e32 v3, 0x100, v2
	s_mov_b64 s[16:17], 0
	v_mov_b32_e32 v10, s3
	v_mov_b32_e32 v9, v8
	v_mov_b64_e32 v[4:5], v[2:3]
.LBB3_109:                              ; =>This Inner Loop Header: Depth=1
	v_add_u32_e32 v9, -2, v9
	v_ashrrev_i32_e32 v13, 31, v5
	v_mov_b32_e32 v12, v5
	v_ashrrev_i32_e32 v15, 31, v4
	v_mov_b32_e32 v14, v4
	v_cmp_eq_u32_e32 vcc, 0, v9
	v_add_u32_e32 v5, 0x200, v5
	v_add_u32_e32 v4, 0x200, v4
	v_lshl_add_u64 v[14:15], v[14:15], 2, s[8:9]
	v_lshl_add_u64 v[12:13], v[12:13], 2, s[8:9]
	s_or_b64 s[16:17], vcc, s[16:17]
	global_store_dword v[14:15], v10, off
	global_store_dword v[12:13], v10, off
	s_andn2_b64 exec, exec, s[16:17]
	s_cbranch_execnz .LBB3_109
; %bb.110:
	s_or_b64 exec, exec, s[16:17]
	v_cmp_ne_u32_e32 vcc, v7, v8
	v_lshl_add_u32 v2, v8, 8, v2
	s_orn2_b64 s[16:17], vcc, exec
.LBB3_111:
	s_or_b64 exec, exec, s[14:15]
	s_andn2_b64 s[10:11], s[10:11], exec
	s_and_b64 s[14:15], s[16:17], exec
	s_or_b64 s[10:11], s[10:11], s[14:15]
.LBB3_112:
	s_or_b64 exec, exec, s[12:13]
	s_and_b64 exec, exec, s[10:11]
	s_cbranch_execz .LBB3_115
; %bb.113:
	s_mov_b64 s[10:11], 0
	v_mov_b32_e32 v4, s3
.LBB3_114:                              ; =>This Inner Loop Header: Depth=1
	v_ashrrev_i32_e32 v3, 31, v2
	v_lshl_add_u64 v[8:9], v[2:3], 2, s[8:9]
	v_add_u32_e32 v2, 0x100, v2
	v_cmp_ge_i32_e32 vcc, v2, v6
	s_or_b64 s[10:11], vcc, s[10:11]
	global_store_dword v[8:9], v4, off
	s_andn2_b64 exec, exec, s[10:11]
	s_cbranch_execnz .LBB3_114
.LBB3_115:
	s_or_b64 exec, exec, s[0:1]
	ds_read_b32 v1, v1 offset:24
	s_waitcnt lgkmcnt(0)
	v_cmp_ne_u32_e32 vcc, 0, v1
	s_cbranch_vccnz .LBB3_131
.LBB3_116:
	s_or_b32 s10, s2, 6
	s_cmp_lt_i32 s10, s23
	s_cselect_b64 s[0:1], -1, 0
	s_cmp_ge_i32 s10, s23
	v_mov_b32_e32 v1, 0
	v_mov_b32_e32 v3, 0
	s_cbranch_scc0 .LBB3_119
; %bb.117:
	s_andn2_b64 vcc, exec, s[0:1]
	s_cbranch_vccz .LBB3_120
.LBB3_118:
	v_add_u32_e32 v2, v3, v0
	v_cmp_lt_i32_e32 vcc, v2, v1
	s_and_saveexec_b64 s[0:1], vcc
	s_cbranch_execnz .LBB3_121
	s_branch .LBB3_130
.LBB3_119:
	s_ashr_i32 s3, s2, 31
	s_lshl_b64 s[12:13], s[2:3], 2
	s_add_u32 s12, s4, s12
	s_addc_u32 s13, s5, s13
	v_mov_b32_e32 v2, 0
	global_load_dword v2, v2, s[12:13] offset:24
	s_waitcnt vmcnt(0)
	v_subrev_u32_e32 v3, s22, v2
	s_andn2_b64 vcc, exec, s[0:1]
	s_cbranch_vccnz .LBB3_118
.LBB3_120:
	s_ashr_i32 s3, s2, 31
	s_lshl_b64 s[0:1], s[2:3], 2
	s_add_u32 s0, s6, s0
	s_addc_u32 s1, s7, s1
	v_mov_b32_e32 v1, 0
	global_load_dword v1, v1, s[0:1] offset:24
	s_waitcnt vmcnt(0)
	v_subrev_u32_e32 v1, s22, v1
	v_add_u32_e32 v2, v3, v0
	v_cmp_lt_i32_e32 vcc, v2, v1
	s_and_saveexec_b64 s[0:1], vcc
	s_cbranch_execz .LBB3_130
.LBB3_121:
	v_add_u32_e32 v4, 0x100, v2
	v_max_i32_e32 v4, v1, v4
	v_xad_u32 v4, v0, -1, v4
	s_add_i32 s3, s10, s22
	v_sub_u32_e32 v3, v4, v3
	s_movk_i32 s10, 0x1b00
	s_movk_i32 s12, 0x1aff
	v_cmp_gt_u32_e64 s[10:11], s10, v3
	v_cmp_lt_u32_e32 vcc, s12, v3
	s_and_saveexec_b64 s[12:13], vcc
	s_cbranch_execz .LBB3_127
; %bb.122:
	v_and_b32_e32 v4, 0xffffff00, v3
	v_add_u32_e32 v4, v2, v4
	v_cmp_ge_i32_e32 vcc, v4, v2
	s_mov_b64 s[16:17], -1
	s_and_saveexec_b64 s[14:15], vcc
	s_cbranch_execz .LBB3_126
; %bb.123:
	v_lshrrev_b32_e32 v3, 8, v3
	v_add_u32_e32 v6, 1, v3
	v_and_b32_e32 v7, 0x1fffffe, v6
	v_add_u32_e32 v3, 0x100, v2
	s_mov_b64 s[16:17], 0
	v_mov_b32_e32 v9, s3
	v_mov_b32_e32 v8, v7
	v_mov_b64_e32 v[4:5], v[2:3]
.LBB3_124:                              ; =>This Inner Loop Header: Depth=1
	v_add_u32_e32 v8, -2, v8
	v_ashrrev_i32_e32 v11, 31, v5
	v_mov_b32_e32 v10, v5
	v_ashrrev_i32_e32 v13, 31, v4
	v_mov_b32_e32 v12, v4
	v_cmp_eq_u32_e32 vcc, 0, v8
	v_add_u32_e32 v5, 0x200, v5
	v_add_u32_e32 v4, 0x200, v4
	v_lshl_add_u64 v[12:13], v[12:13], 2, s[8:9]
	v_lshl_add_u64 v[10:11], v[10:11], 2, s[8:9]
	s_or_b64 s[16:17], vcc, s[16:17]
	global_store_dword v[12:13], v9, off
	global_store_dword v[10:11], v9, off
	s_andn2_b64 exec, exec, s[16:17]
	s_cbranch_execnz .LBB3_124
; %bb.125:
	s_or_b64 exec, exec, s[16:17]
	v_cmp_ne_u32_e32 vcc, v6, v7
	v_lshl_add_u32 v2, v7, 8, v2
	s_orn2_b64 s[16:17], vcc, exec
.LBB3_126:
	s_or_b64 exec, exec, s[14:15]
	s_andn2_b64 s[10:11], s[10:11], exec
	s_and_b64 s[14:15], s[16:17], exec
	s_or_b64 s[10:11], s[10:11], s[14:15]
.LBB3_127:
	s_or_b64 exec, exec, s[12:13]
	s_and_b64 exec, exec, s[10:11]
	s_cbranch_execz .LBB3_130
; %bb.128:
	s_mov_b64 s[10:11], 0
	v_mov_b32_e32 v4, s3
.LBB3_129:                              ; =>This Inner Loop Header: Depth=1
	v_ashrrev_i32_e32 v3, 31, v2
	v_lshl_add_u64 v[6:7], v[2:3], 2, s[8:9]
	v_add_u32_e32 v2, 0x100, v2
	v_cmp_ge_i32_e32 vcc, v2, v1
	s_or_b64 s[10:11], vcc, s[10:11]
	global_store_dword v[6:7], v4, off
	s_andn2_b64 exec, exec, s[10:11]
	s_cbranch_execnz .LBB3_129
.LBB3_130:
	s_or_b64 exec, exec, s[0:1]
.LBB3_131:
	v_mov_b32_e32 v1, 0
	ds_read_b32 v2, v1 offset:28
	s_waitcnt lgkmcnt(0)
	v_cmp_ne_u32_e32 vcc, 0, v2
	s_cbranch_vccz .LBB3_133
; %bb.132:
	ds_read_b32 v1, v1 offset:32
	s_waitcnt lgkmcnt(0)
	v_cmp_ne_u32_e32 vcc, 0, v1
	s_cbranch_vccnz .LBB3_163
	s_branch .LBB3_148
.LBB3_133:
	s_or_b32 s10, s2, 7
	s_cmp_lt_i32 s10, s23
	s_cselect_b64 s[0:1], -1, 0
	s_cmp_ge_i32 s10, s23
	v_mov_b32_e32 v3, 0
	s_cbranch_scc0 .LBB3_136
; %bb.134:
	s_andn2_b64 vcc, exec, s[0:1]
	v_mov_b32_e32 v6, 0
	s_cbranch_vccz .LBB3_137
.LBB3_135:
	v_add_u32_e32 v2, v3, v0
	v_cmp_lt_i32_e32 vcc, v2, v6
	s_and_saveexec_b64 s[0:1], vcc
	s_cbranch_execnz .LBB3_138
	s_branch .LBB3_147
.LBB3_136:
	s_ashr_i32 s3, s2, 31
	s_lshl_b64 s[12:13], s[2:3], 2
	s_add_u32 s12, s4, s12
	s_addc_u32 s13, s5, s13
	v_mov_b32_e32 v2, 0
	global_load_dword v2, v2, s[12:13] offset:28
	s_waitcnt vmcnt(0)
	v_subrev_u32_e32 v3, s22, v2
	s_andn2_b64 vcc, exec, s[0:1]
	v_mov_b32_e32 v6, 0
	s_cbranch_vccnz .LBB3_135
.LBB3_137:
	s_ashr_i32 s3, s2, 31
	s_lshl_b64 s[0:1], s[2:3], 2
	s_add_u32 s0, s6, s0
	s_addc_u32 s1, s7, s1
	v_mov_b32_e32 v2, 0
	global_load_dword v2, v2, s[0:1] offset:28
	s_waitcnt vmcnt(0)
	v_subrev_u32_e32 v6, s22, v2
	v_add_u32_e32 v2, v3, v0
	v_cmp_lt_i32_e32 vcc, v2, v6
	s_and_saveexec_b64 s[0:1], vcc
	s_cbranch_execz .LBB3_147
.LBB3_138:
	v_add_u32_e32 v4, 0x100, v2
	v_max_i32_e32 v4, v6, v4
	v_xad_u32 v4, v0, -1, v4
	s_add_i32 s3, s10, s22
	v_sub_u32_e32 v3, v4, v3
	s_movk_i32 s10, 0x1b00
	s_movk_i32 s12, 0x1aff
	v_cmp_gt_u32_e64 s[10:11], s10, v3
	v_cmp_lt_u32_e32 vcc, s12, v3
	s_and_saveexec_b64 s[12:13], vcc
	s_cbranch_execz .LBB3_144
; %bb.139:
	v_and_b32_e32 v4, 0xffffff00, v3
	v_add_u32_e32 v4, v2, v4
	v_cmp_ge_i32_e32 vcc, v4, v2
	s_mov_b64 s[16:17], -1
	s_and_saveexec_b64 s[14:15], vcc
	s_cbranch_execz .LBB3_143
; %bb.140:
	v_lshrrev_b32_e32 v3, 8, v3
	v_add_u32_e32 v7, 1, v3
	v_and_b32_e32 v8, 0x1fffffe, v7
	v_add_u32_e32 v3, 0x100, v2
	s_mov_b64 s[16:17], 0
	v_mov_b32_e32 v10, s3
	v_mov_b32_e32 v9, v8
	v_mov_b64_e32 v[4:5], v[2:3]
.LBB3_141:                              ; =>This Inner Loop Header: Depth=1
	v_add_u32_e32 v9, -2, v9
	v_ashrrev_i32_e32 v13, 31, v5
	v_mov_b32_e32 v12, v5
	v_ashrrev_i32_e32 v15, 31, v4
	v_mov_b32_e32 v14, v4
	v_cmp_eq_u32_e32 vcc, 0, v9
	v_add_u32_e32 v5, 0x200, v5
	v_add_u32_e32 v4, 0x200, v4
	v_lshl_add_u64 v[14:15], v[14:15], 2, s[8:9]
	v_lshl_add_u64 v[12:13], v[12:13], 2, s[8:9]
	s_or_b64 s[16:17], vcc, s[16:17]
	global_store_dword v[14:15], v10, off
	global_store_dword v[12:13], v10, off
	s_andn2_b64 exec, exec, s[16:17]
	s_cbranch_execnz .LBB3_141
; %bb.142:
	s_or_b64 exec, exec, s[16:17]
	v_cmp_ne_u32_e32 vcc, v7, v8
	v_lshl_add_u32 v2, v8, 8, v2
	s_orn2_b64 s[16:17], vcc, exec
.LBB3_143:
	s_or_b64 exec, exec, s[14:15]
	s_andn2_b64 s[10:11], s[10:11], exec
	s_and_b64 s[14:15], s[16:17], exec
	s_or_b64 s[10:11], s[10:11], s[14:15]
.LBB3_144:
	s_or_b64 exec, exec, s[12:13]
	s_and_b64 exec, exec, s[10:11]
	s_cbranch_execz .LBB3_147
; %bb.145:
	s_mov_b64 s[10:11], 0
	v_mov_b32_e32 v4, s3
.LBB3_146:                              ; =>This Inner Loop Header: Depth=1
	v_ashrrev_i32_e32 v3, 31, v2
	v_lshl_add_u64 v[8:9], v[2:3], 2, s[8:9]
	v_add_u32_e32 v2, 0x100, v2
	v_cmp_ge_i32_e32 vcc, v2, v6
	s_or_b64 s[10:11], vcc, s[10:11]
	global_store_dword v[8:9], v4, off
	s_andn2_b64 exec, exec, s[10:11]
	s_cbranch_execnz .LBB3_146
.LBB3_147:
	s_or_b64 exec, exec, s[0:1]
	ds_read_b32 v1, v1 offset:32
	s_waitcnt lgkmcnt(0)
	v_cmp_ne_u32_e32 vcc, 0, v1
	s_cbranch_vccnz .LBB3_163
.LBB3_148:
	s_or_b32 s10, s2, 8
	s_cmp_lt_i32 s10, s23
	s_cselect_b64 s[0:1], -1, 0
	s_cmp_ge_i32 s10, s23
	v_mov_b32_e32 v1, 0
	v_mov_b32_e32 v3, 0
	s_cbranch_scc0 .LBB3_151
; %bb.149:
	s_andn2_b64 vcc, exec, s[0:1]
	s_cbranch_vccz .LBB3_152
.LBB3_150:
	v_add_u32_e32 v2, v3, v0
	v_cmp_lt_i32_e32 vcc, v2, v1
	s_and_saveexec_b64 s[0:1], vcc
	s_cbranch_execnz .LBB3_153
	s_branch .LBB3_162
.LBB3_151:
	s_ashr_i32 s3, s2, 31
	s_lshl_b64 s[12:13], s[2:3], 2
	s_add_u32 s12, s4, s12
	s_addc_u32 s13, s5, s13
	v_mov_b32_e32 v2, 0
	global_load_dword v2, v2, s[12:13] offset:32
	s_waitcnt vmcnt(0)
	v_subrev_u32_e32 v3, s22, v2
	s_andn2_b64 vcc, exec, s[0:1]
	s_cbranch_vccnz .LBB3_150
.LBB3_152:
	s_ashr_i32 s3, s2, 31
	s_lshl_b64 s[0:1], s[2:3], 2
	s_add_u32 s0, s6, s0
	s_addc_u32 s1, s7, s1
	v_mov_b32_e32 v1, 0
	global_load_dword v1, v1, s[0:1] offset:32
	s_waitcnt vmcnt(0)
	v_subrev_u32_e32 v1, s22, v1
	v_add_u32_e32 v2, v3, v0
	v_cmp_lt_i32_e32 vcc, v2, v1
	s_and_saveexec_b64 s[0:1], vcc
	s_cbranch_execz .LBB3_162
.LBB3_153:
	v_add_u32_e32 v4, 0x100, v2
	v_max_i32_e32 v4, v1, v4
	v_xad_u32 v4, v0, -1, v4
	s_add_i32 s3, s10, s22
	v_sub_u32_e32 v3, v4, v3
	s_movk_i32 s10, 0x1b00
	s_movk_i32 s12, 0x1aff
	v_cmp_gt_u32_e64 s[10:11], s10, v3
	v_cmp_lt_u32_e32 vcc, s12, v3
	s_and_saveexec_b64 s[12:13], vcc
	s_cbranch_execz .LBB3_159
; %bb.154:
	v_and_b32_e32 v4, 0xffffff00, v3
	v_add_u32_e32 v4, v2, v4
	v_cmp_ge_i32_e32 vcc, v4, v2
	s_mov_b64 s[16:17], -1
	s_and_saveexec_b64 s[14:15], vcc
	s_cbranch_execz .LBB3_158
; %bb.155:
	v_lshrrev_b32_e32 v3, 8, v3
	v_add_u32_e32 v6, 1, v3
	v_and_b32_e32 v7, 0x1fffffe, v6
	v_add_u32_e32 v3, 0x100, v2
	s_mov_b64 s[16:17], 0
	v_mov_b32_e32 v9, s3
	v_mov_b32_e32 v8, v7
	v_mov_b64_e32 v[4:5], v[2:3]
.LBB3_156:                              ; =>This Inner Loop Header: Depth=1
	v_add_u32_e32 v8, -2, v8
	v_ashrrev_i32_e32 v11, 31, v5
	v_mov_b32_e32 v10, v5
	v_ashrrev_i32_e32 v13, 31, v4
	v_mov_b32_e32 v12, v4
	v_cmp_eq_u32_e32 vcc, 0, v8
	v_add_u32_e32 v5, 0x200, v5
	v_add_u32_e32 v4, 0x200, v4
	v_lshl_add_u64 v[12:13], v[12:13], 2, s[8:9]
	v_lshl_add_u64 v[10:11], v[10:11], 2, s[8:9]
	s_or_b64 s[16:17], vcc, s[16:17]
	global_store_dword v[12:13], v9, off
	global_store_dword v[10:11], v9, off
	s_andn2_b64 exec, exec, s[16:17]
	s_cbranch_execnz .LBB3_156
; %bb.157:
	s_or_b64 exec, exec, s[16:17]
	v_cmp_ne_u32_e32 vcc, v6, v7
	v_lshl_add_u32 v2, v7, 8, v2
	s_orn2_b64 s[16:17], vcc, exec
.LBB3_158:
	s_or_b64 exec, exec, s[14:15]
	s_andn2_b64 s[10:11], s[10:11], exec
	s_and_b64 s[14:15], s[16:17], exec
	s_or_b64 s[10:11], s[10:11], s[14:15]
.LBB3_159:
	s_or_b64 exec, exec, s[12:13]
	s_and_b64 exec, exec, s[10:11]
	s_cbranch_execz .LBB3_162
; %bb.160:
	s_mov_b64 s[10:11], 0
	v_mov_b32_e32 v4, s3
.LBB3_161:                              ; =>This Inner Loop Header: Depth=1
	v_ashrrev_i32_e32 v3, 31, v2
	v_lshl_add_u64 v[6:7], v[2:3], 2, s[8:9]
	v_add_u32_e32 v2, 0x100, v2
	v_cmp_ge_i32_e32 vcc, v2, v1
	s_or_b64 s[10:11], vcc, s[10:11]
	global_store_dword v[6:7], v4, off
	s_andn2_b64 exec, exec, s[10:11]
	s_cbranch_execnz .LBB3_161
.LBB3_162:
	s_or_b64 exec, exec, s[0:1]
.LBB3_163:
	v_mov_b32_e32 v1, 0
	ds_read_b32 v2, v1 offset:36
	s_waitcnt lgkmcnt(0)
	v_cmp_ne_u32_e32 vcc, 0, v2
	s_cbranch_vccz .LBB3_165
; %bb.164:
	ds_read_b32 v1, v1 offset:40
	s_waitcnt lgkmcnt(0)
	v_cmp_ne_u32_e32 vcc, 0, v1
	s_cbranch_vccnz .LBB3_195
	s_branch .LBB3_180
.LBB3_165:
	s_or_b32 s10, s2, 9
	s_cmp_lt_i32 s10, s23
	s_cselect_b64 s[0:1], -1, 0
	s_cmp_ge_i32 s10, s23
	v_mov_b32_e32 v3, 0
	s_cbranch_scc0 .LBB3_168
; %bb.166:
	s_andn2_b64 vcc, exec, s[0:1]
	v_mov_b32_e32 v6, 0
	s_cbranch_vccz .LBB3_169
.LBB3_167:
	v_add_u32_e32 v2, v3, v0
	v_cmp_lt_i32_e32 vcc, v2, v6
	s_and_saveexec_b64 s[0:1], vcc
	s_cbranch_execnz .LBB3_170
	s_branch .LBB3_179
.LBB3_168:
	s_ashr_i32 s3, s2, 31
	s_lshl_b64 s[12:13], s[2:3], 2
	s_add_u32 s12, s4, s12
	s_addc_u32 s13, s5, s13
	v_mov_b32_e32 v2, 0
	global_load_dword v2, v2, s[12:13] offset:36
	s_waitcnt vmcnt(0)
	v_subrev_u32_e32 v3, s22, v2
	s_andn2_b64 vcc, exec, s[0:1]
	v_mov_b32_e32 v6, 0
	s_cbranch_vccnz .LBB3_167
.LBB3_169:
	s_ashr_i32 s3, s2, 31
	s_lshl_b64 s[0:1], s[2:3], 2
	s_add_u32 s0, s6, s0
	s_addc_u32 s1, s7, s1
	v_mov_b32_e32 v2, 0
	global_load_dword v2, v2, s[0:1] offset:36
	s_waitcnt vmcnt(0)
	v_subrev_u32_e32 v6, s22, v2
	v_add_u32_e32 v2, v3, v0
	v_cmp_lt_i32_e32 vcc, v2, v6
	s_and_saveexec_b64 s[0:1], vcc
	s_cbranch_execz .LBB3_179
.LBB3_170:
	v_add_u32_e32 v4, 0x100, v2
	v_max_i32_e32 v4, v6, v4
	v_xad_u32 v4, v0, -1, v4
	s_add_i32 s3, s10, s22
	v_sub_u32_e32 v3, v4, v3
	s_movk_i32 s10, 0x1b00
	s_movk_i32 s12, 0x1aff
	v_cmp_gt_u32_e64 s[10:11], s10, v3
	v_cmp_lt_u32_e32 vcc, s12, v3
	s_and_saveexec_b64 s[12:13], vcc
	s_cbranch_execz .LBB3_176
; %bb.171:
	v_and_b32_e32 v4, 0xffffff00, v3
	v_add_u32_e32 v4, v2, v4
	v_cmp_ge_i32_e32 vcc, v4, v2
	s_mov_b64 s[16:17], -1
	s_and_saveexec_b64 s[14:15], vcc
	s_cbranch_execz .LBB3_175
; %bb.172:
	v_lshrrev_b32_e32 v3, 8, v3
	v_add_u32_e32 v7, 1, v3
	v_and_b32_e32 v8, 0x1fffffe, v7
	v_add_u32_e32 v3, 0x100, v2
	s_mov_b64 s[16:17], 0
	v_mov_b32_e32 v10, s3
	v_mov_b32_e32 v9, v8
	v_mov_b64_e32 v[4:5], v[2:3]
.LBB3_173:                              ; =>This Inner Loop Header: Depth=1
	v_add_u32_e32 v9, -2, v9
	v_ashrrev_i32_e32 v13, 31, v5
	v_mov_b32_e32 v12, v5
	v_ashrrev_i32_e32 v15, 31, v4
	v_mov_b32_e32 v14, v4
	v_cmp_eq_u32_e32 vcc, 0, v9
	v_add_u32_e32 v5, 0x200, v5
	v_add_u32_e32 v4, 0x200, v4
	v_lshl_add_u64 v[14:15], v[14:15], 2, s[8:9]
	v_lshl_add_u64 v[12:13], v[12:13], 2, s[8:9]
	s_or_b64 s[16:17], vcc, s[16:17]
	global_store_dword v[14:15], v10, off
	global_store_dword v[12:13], v10, off
	s_andn2_b64 exec, exec, s[16:17]
	s_cbranch_execnz .LBB3_173
; %bb.174:
	s_or_b64 exec, exec, s[16:17]
	v_cmp_ne_u32_e32 vcc, v7, v8
	v_lshl_add_u32 v2, v8, 8, v2
	s_orn2_b64 s[16:17], vcc, exec
.LBB3_175:
	s_or_b64 exec, exec, s[14:15]
	s_andn2_b64 s[10:11], s[10:11], exec
	s_and_b64 s[14:15], s[16:17], exec
	s_or_b64 s[10:11], s[10:11], s[14:15]
.LBB3_176:
	s_or_b64 exec, exec, s[12:13]
	s_and_b64 exec, exec, s[10:11]
	s_cbranch_execz .LBB3_179
; %bb.177:
	s_mov_b64 s[10:11], 0
	v_mov_b32_e32 v4, s3
.LBB3_178:                              ; =>This Inner Loop Header: Depth=1
	v_ashrrev_i32_e32 v3, 31, v2
	v_lshl_add_u64 v[8:9], v[2:3], 2, s[8:9]
	v_add_u32_e32 v2, 0x100, v2
	v_cmp_ge_i32_e32 vcc, v2, v6
	s_or_b64 s[10:11], vcc, s[10:11]
	global_store_dword v[8:9], v4, off
	s_andn2_b64 exec, exec, s[10:11]
	s_cbranch_execnz .LBB3_178
.LBB3_179:
	s_or_b64 exec, exec, s[0:1]
	ds_read_b32 v1, v1 offset:40
	s_waitcnt lgkmcnt(0)
	v_cmp_ne_u32_e32 vcc, 0, v1
	s_cbranch_vccnz .LBB3_195
.LBB3_180:
	s_or_b32 s10, s2, 10
	s_cmp_lt_i32 s10, s23
	s_cselect_b64 s[0:1], -1, 0
	s_cmp_ge_i32 s10, s23
	v_mov_b32_e32 v1, 0
	v_mov_b32_e32 v3, 0
	s_cbranch_scc0 .LBB3_183
; %bb.181:
	s_andn2_b64 vcc, exec, s[0:1]
	s_cbranch_vccz .LBB3_184
.LBB3_182:
	v_add_u32_e32 v2, v3, v0
	v_cmp_lt_i32_e32 vcc, v2, v1
	s_and_saveexec_b64 s[0:1], vcc
	s_cbranch_execnz .LBB3_185
	s_branch .LBB3_194
.LBB3_183:
	s_ashr_i32 s3, s2, 31
	s_lshl_b64 s[12:13], s[2:3], 2
	s_add_u32 s12, s4, s12
	s_addc_u32 s13, s5, s13
	v_mov_b32_e32 v2, 0
	global_load_dword v2, v2, s[12:13] offset:40
	s_waitcnt vmcnt(0)
	v_subrev_u32_e32 v3, s22, v2
	s_andn2_b64 vcc, exec, s[0:1]
	s_cbranch_vccnz .LBB3_182
.LBB3_184:
	s_ashr_i32 s3, s2, 31
	s_lshl_b64 s[0:1], s[2:3], 2
	s_add_u32 s0, s6, s0
	s_addc_u32 s1, s7, s1
	v_mov_b32_e32 v1, 0
	global_load_dword v1, v1, s[0:1] offset:40
	s_waitcnt vmcnt(0)
	v_subrev_u32_e32 v1, s22, v1
	v_add_u32_e32 v2, v3, v0
	v_cmp_lt_i32_e32 vcc, v2, v1
	s_and_saveexec_b64 s[0:1], vcc
	s_cbranch_execz .LBB3_194
.LBB3_185:
	v_add_u32_e32 v4, 0x100, v2
	v_max_i32_e32 v4, v1, v4
	v_xad_u32 v4, v0, -1, v4
	s_add_i32 s3, s10, s22
	v_sub_u32_e32 v3, v4, v3
	s_movk_i32 s10, 0x1b00
	s_movk_i32 s12, 0x1aff
	v_cmp_gt_u32_e64 s[10:11], s10, v3
	v_cmp_lt_u32_e32 vcc, s12, v3
	s_and_saveexec_b64 s[12:13], vcc
	s_cbranch_execz .LBB3_191
; %bb.186:
	v_and_b32_e32 v4, 0xffffff00, v3
	v_add_u32_e32 v4, v2, v4
	v_cmp_ge_i32_e32 vcc, v4, v2
	s_mov_b64 s[16:17], -1
	s_and_saveexec_b64 s[14:15], vcc
	s_cbranch_execz .LBB3_190
; %bb.187:
	v_lshrrev_b32_e32 v3, 8, v3
	v_add_u32_e32 v6, 1, v3
	v_and_b32_e32 v7, 0x1fffffe, v6
	v_add_u32_e32 v3, 0x100, v2
	s_mov_b64 s[16:17], 0
	v_mov_b32_e32 v9, s3
	v_mov_b32_e32 v8, v7
	v_mov_b64_e32 v[4:5], v[2:3]
.LBB3_188:                              ; =>This Inner Loop Header: Depth=1
	v_add_u32_e32 v8, -2, v8
	v_ashrrev_i32_e32 v11, 31, v5
	v_mov_b32_e32 v10, v5
	v_ashrrev_i32_e32 v13, 31, v4
	v_mov_b32_e32 v12, v4
	v_cmp_eq_u32_e32 vcc, 0, v8
	v_add_u32_e32 v5, 0x200, v5
	v_add_u32_e32 v4, 0x200, v4
	v_lshl_add_u64 v[12:13], v[12:13], 2, s[8:9]
	v_lshl_add_u64 v[10:11], v[10:11], 2, s[8:9]
	s_or_b64 s[16:17], vcc, s[16:17]
	global_store_dword v[12:13], v9, off
	global_store_dword v[10:11], v9, off
	s_andn2_b64 exec, exec, s[16:17]
	s_cbranch_execnz .LBB3_188
; %bb.189:
	s_or_b64 exec, exec, s[16:17]
	v_cmp_ne_u32_e32 vcc, v6, v7
	v_lshl_add_u32 v2, v7, 8, v2
	s_orn2_b64 s[16:17], vcc, exec
.LBB3_190:
	s_or_b64 exec, exec, s[14:15]
	s_andn2_b64 s[10:11], s[10:11], exec
	s_and_b64 s[14:15], s[16:17], exec
	s_or_b64 s[10:11], s[10:11], s[14:15]
.LBB3_191:
	s_or_b64 exec, exec, s[12:13]
	s_and_b64 exec, exec, s[10:11]
	s_cbranch_execz .LBB3_194
; %bb.192:
	s_mov_b64 s[10:11], 0
	v_mov_b32_e32 v4, s3
.LBB3_193:                              ; =>This Inner Loop Header: Depth=1
	v_ashrrev_i32_e32 v3, 31, v2
	v_lshl_add_u64 v[6:7], v[2:3], 2, s[8:9]
	v_add_u32_e32 v2, 0x100, v2
	v_cmp_ge_i32_e32 vcc, v2, v1
	s_or_b64 s[10:11], vcc, s[10:11]
	global_store_dword v[6:7], v4, off
	s_andn2_b64 exec, exec, s[10:11]
	s_cbranch_execnz .LBB3_193
.LBB3_194:
	s_or_b64 exec, exec, s[0:1]
.LBB3_195:
	v_mov_b32_e32 v1, 0
	ds_read_b32 v2, v1 offset:44
	s_waitcnt lgkmcnt(0)
	v_cmp_ne_u32_e32 vcc, 0, v2
	s_cbranch_vccz .LBB3_197
; %bb.196:
	ds_read_b32 v1, v1 offset:48
	s_waitcnt lgkmcnt(0)
	v_cmp_ne_u32_e32 vcc, 0, v1
	s_cbranch_vccnz .LBB3_227
	s_branch .LBB3_212
.LBB3_197:
	s_or_b32 s10, s2, 11
	s_cmp_lt_i32 s10, s23
	s_cselect_b64 s[0:1], -1, 0
	s_cmp_ge_i32 s10, s23
	v_mov_b32_e32 v3, 0
	s_cbranch_scc0 .LBB3_200
; %bb.198:
	s_andn2_b64 vcc, exec, s[0:1]
	v_mov_b32_e32 v6, 0
	s_cbranch_vccz .LBB3_201
.LBB3_199:
	v_add_u32_e32 v2, v3, v0
	v_cmp_lt_i32_e32 vcc, v2, v6
	s_and_saveexec_b64 s[0:1], vcc
	s_cbranch_execnz .LBB3_202
	s_branch .LBB3_211
.LBB3_200:
	s_ashr_i32 s3, s2, 31
	s_lshl_b64 s[12:13], s[2:3], 2
	s_add_u32 s12, s4, s12
	s_addc_u32 s13, s5, s13
	v_mov_b32_e32 v2, 0
	global_load_dword v2, v2, s[12:13] offset:44
	s_waitcnt vmcnt(0)
	v_subrev_u32_e32 v3, s22, v2
	s_andn2_b64 vcc, exec, s[0:1]
	v_mov_b32_e32 v6, 0
	s_cbranch_vccnz .LBB3_199
.LBB3_201:
	s_ashr_i32 s3, s2, 31
	s_lshl_b64 s[0:1], s[2:3], 2
	s_add_u32 s0, s6, s0
	s_addc_u32 s1, s7, s1
	v_mov_b32_e32 v2, 0
	global_load_dword v2, v2, s[0:1] offset:44
	s_waitcnt vmcnt(0)
	v_subrev_u32_e32 v6, s22, v2
	v_add_u32_e32 v2, v3, v0
	v_cmp_lt_i32_e32 vcc, v2, v6
	s_and_saveexec_b64 s[0:1], vcc
	s_cbranch_execz .LBB3_211
.LBB3_202:
	v_add_u32_e32 v4, 0x100, v2
	v_max_i32_e32 v4, v6, v4
	v_xad_u32 v4, v0, -1, v4
	s_add_i32 s3, s10, s22
	v_sub_u32_e32 v3, v4, v3
	s_movk_i32 s10, 0x1b00
	s_movk_i32 s12, 0x1aff
	v_cmp_gt_u32_e64 s[10:11], s10, v3
	v_cmp_lt_u32_e32 vcc, s12, v3
	s_and_saveexec_b64 s[12:13], vcc
	s_cbranch_execz .LBB3_208
; %bb.203:
	v_and_b32_e32 v4, 0xffffff00, v3
	v_add_u32_e32 v4, v2, v4
	v_cmp_ge_i32_e32 vcc, v4, v2
	s_mov_b64 s[16:17], -1
	s_and_saveexec_b64 s[14:15], vcc
	s_cbranch_execz .LBB3_207
; %bb.204:
	v_lshrrev_b32_e32 v3, 8, v3
	v_add_u32_e32 v7, 1, v3
	v_and_b32_e32 v8, 0x1fffffe, v7
	v_add_u32_e32 v3, 0x100, v2
	s_mov_b64 s[16:17], 0
	v_mov_b32_e32 v10, s3
	v_mov_b32_e32 v9, v8
	v_mov_b64_e32 v[4:5], v[2:3]
.LBB3_205:                              ; =>This Inner Loop Header: Depth=1
	v_add_u32_e32 v9, -2, v9
	v_ashrrev_i32_e32 v13, 31, v5
	v_mov_b32_e32 v12, v5
	v_ashrrev_i32_e32 v15, 31, v4
	v_mov_b32_e32 v14, v4
	v_cmp_eq_u32_e32 vcc, 0, v9
	v_add_u32_e32 v5, 0x200, v5
	v_add_u32_e32 v4, 0x200, v4
	v_lshl_add_u64 v[14:15], v[14:15], 2, s[8:9]
	v_lshl_add_u64 v[12:13], v[12:13], 2, s[8:9]
	s_or_b64 s[16:17], vcc, s[16:17]
	global_store_dword v[14:15], v10, off
	global_store_dword v[12:13], v10, off
	s_andn2_b64 exec, exec, s[16:17]
	s_cbranch_execnz .LBB3_205
; %bb.206:
	s_or_b64 exec, exec, s[16:17]
	v_cmp_ne_u32_e32 vcc, v7, v8
	v_lshl_add_u32 v2, v8, 8, v2
	s_orn2_b64 s[16:17], vcc, exec
.LBB3_207:
	s_or_b64 exec, exec, s[14:15]
	s_andn2_b64 s[10:11], s[10:11], exec
	s_and_b64 s[14:15], s[16:17], exec
	s_or_b64 s[10:11], s[10:11], s[14:15]
.LBB3_208:
	s_or_b64 exec, exec, s[12:13]
	s_and_b64 exec, exec, s[10:11]
	s_cbranch_execz .LBB3_211
; %bb.209:
	s_mov_b64 s[10:11], 0
	v_mov_b32_e32 v4, s3
.LBB3_210:                              ; =>This Inner Loop Header: Depth=1
	v_ashrrev_i32_e32 v3, 31, v2
	v_lshl_add_u64 v[8:9], v[2:3], 2, s[8:9]
	v_add_u32_e32 v2, 0x100, v2
	v_cmp_ge_i32_e32 vcc, v2, v6
	s_or_b64 s[10:11], vcc, s[10:11]
	global_store_dword v[8:9], v4, off
	s_andn2_b64 exec, exec, s[10:11]
	s_cbranch_execnz .LBB3_210
.LBB3_211:
	s_or_b64 exec, exec, s[0:1]
	ds_read_b32 v1, v1 offset:48
	s_waitcnt lgkmcnt(0)
	v_cmp_ne_u32_e32 vcc, 0, v1
	s_cbranch_vccnz .LBB3_227
.LBB3_212:
	s_or_b32 s10, s2, 12
	s_cmp_lt_i32 s10, s23
	s_cselect_b64 s[0:1], -1, 0
	s_cmp_ge_i32 s10, s23
	v_mov_b32_e32 v1, 0
	v_mov_b32_e32 v3, 0
	s_cbranch_scc0 .LBB3_215
; %bb.213:
	s_andn2_b64 vcc, exec, s[0:1]
	s_cbranch_vccz .LBB3_216
.LBB3_214:
	v_add_u32_e32 v2, v3, v0
	v_cmp_lt_i32_e32 vcc, v2, v1
	s_and_saveexec_b64 s[0:1], vcc
	s_cbranch_execnz .LBB3_217
	s_branch .LBB3_226
.LBB3_215:
	s_ashr_i32 s3, s2, 31
	s_lshl_b64 s[12:13], s[2:3], 2
	s_add_u32 s12, s4, s12
	s_addc_u32 s13, s5, s13
	v_mov_b32_e32 v2, 0
	global_load_dword v2, v2, s[12:13] offset:48
	s_waitcnt vmcnt(0)
	v_subrev_u32_e32 v3, s22, v2
	s_andn2_b64 vcc, exec, s[0:1]
	s_cbranch_vccnz .LBB3_214
.LBB3_216:
	s_ashr_i32 s3, s2, 31
	s_lshl_b64 s[0:1], s[2:3], 2
	s_add_u32 s0, s6, s0
	s_addc_u32 s1, s7, s1
	v_mov_b32_e32 v1, 0
	global_load_dword v1, v1, s[0:1] offset:48
	s_waitcnt vmcnt(0)
	v_subrev_u32_e32 v1, s22, v1
	v_add_u32_e32 v2, v3, v0
	v_cmp_lt_i32_e32 vcc, v2, v1
	s_and_saveexec_b64 s[0:1], vcc
	s_cbranch_execz .LBB3_226
.LBB3_217:
	v_add_u32_e32 v4, 0x100, v2
	v_max_i32_e32 v4, v1, v4
	v_xad_u32 v4, v0, -1, v4
	s_add_i32 s3, s10, s22
	v_sub_u32_e32 v3, v4, v3
	s_movk_i32 s10, 0x1b00
	s_movk_i32 s12, 0x1aff
	v_cmp_gt_u32_e64 s[10:11], s10, v3
	v_cmp_lt_u32_e32 vcc, s12, v3
	s_and_saveexec_b64 s[12:13], vcc
	s_cbranch_execz .LBB3_223
; %bb.218:
	v_and_b32_e32 v4, 0xffffff00, v3
	v_add_u32_e32 v4, v2, v4
	v_cmp_ge_i32_e32 vcc, v4, v2
	s_mov_b64 s[16:17], -1
	s_and_saveexec_b64 s[14:15], vcc
	s_cbranch_execz .LBB3_222
; %bb.219:
	v_lshrrev_b32_e32 v3, 8, v3
	v_add_u32_e32 v6, 1, v3
	v_and_b32_e32 v7, 0x1fffffe, v6
	v_add_u32_e32 v3, 0x100, v2
	s_mov_b64 s[16:17], 0
	v_mov_b32_e32 v9, s3
	v_mov_b32_e32 v8, v7
	v_mov_b64_e32 v[4:5], v[2:3]
.LBB3_220:                              ; =>This Inner Loop Header: Depth=1
	v_add_u32_e32 v8, -2, v8
	v_ashrrev_i32_e32 v11, 31, v5
	v_mov_b32_e32 v10, v5
	v_ashrrev_i32_e32 v13, 31, v4
	v_mov_b32_e32 v12, v4
	v_cmp_eq_u32_e32 vcc, 0, v8
	v_add_u32_e32 v5, 0x200, v5
	v_add_u32_e32 v4, 0x200, v4
	v_lshl_add_u64 v[12:13], v[12:13], 2, s[8:9]
	v_lshl_add_u64 v[10:11], v[10:11], 2, s[8:9]
	s_or_b64 s[16:17], vcc, s[16:17]
	global_store_dword v[12:13], v9, off
	global_store_dword v[10:11], v9, off
	s_andn2_b64 exec, exec, s[16:17]
	s_cbranch_execnz .LBB3_220
; %bb.221:
	s_or_b64 exec, exec, s[16:17]
	v_cmp_ne_u32_e32 vcc, v6, v7
	v_lshl_add_u32 v2, v7, 8, v2
	s_orn2_b64 s[16:17], vcc, exec
.LBB3_222:
	s_or_b64 exec, exec, s[14:15]
	s_andn2_b64 s[10:11], s[10:11], exec
	s_and_b64 s[14:15], s[16:17], exec
	s_or_b64 s[10:11], s[10:11], s[14:15]
.LBB3_223:
	s_or_b64 exec, exec, s[12:13]
	s_and_b64 exec, exec, s[10:11]
	s_cbranch_execz .LBB3_226
; %bb.224:
	s_mov_b64 s[10:11], 0
	v_mov_b32_e32 v4, s3
.LBB3_225:                              ; =>This Inner Loop Header: Depth=1
	v_ashrrev_i32_e32 v3, 31, v2
	v_lshl_add_u64 v[6:7], v[2:3], 2, s[8:9]
	v_add_u32_e32 v2, 0x100, v2
	v_cmp_ge_i32_e32 vcc, v2, v1
	s_or_b64 s[10:11], vcc, s[10:11]
	global_store_dword v[6:7], v4, off
	s_andn2_b64 exec, exec, s[10:11]
	s_cbranch_execnz .LBB3_225
.LBB3_226:
	s_or_b64 exec, exec, s[0:1]
.LBB3_227:
	v_mov_b32_e32 v1, 0
	ds_read_b32 v2, v1 offset:52
	s_waitcnt lgkmcnt(0)
	v_cmp_ne_u32_e32 vcc, 0, v2
	s_cbranch_vccz .LBB3_229
; %bb.228:
	ds_read_b32 v1, v1 offset:56
	s_waitcnt lgkmcnt(0)
	v_cmp_ne_u32_e32 vcc, 0, v1
	s_cbranch_vccnz .LBB3_259
	s_branch .LBB3_244
.LBB3_229:
	s_or_b32 s10, s2, 13
	s_cmp_lt_i32 s10, s23
	s_cselect_b64 s[0:1], -1, 0
	s_cmp_ge_i32 s10, s23
	v_mov_b32_e32 v3, 0
	s_cbranch_scc0 .LBB3_232
; %bb.230:
	s_andn2_b64 vcc, exec, s[0:1]
	v_mov_b32_e32 v6, 0
	s_cbranch_vccz .LBB3_233
.LBB3_231:
	v_add_u32_e32 v2, v3, v0
	v_cmp_lt_i32_e32 vcc, v2, v6
	s_and_saveexec_b64 s[0:1], vcc
	s_cbranch_execnz .LBB3_234
	s_branch .LBB3_243
.LBB3_232:
	s_ashr_i32 s3, s2, 31
	s_lshl_b64 s[12:13], s[2:3], 2
	s_add_u32 s12, s4, s12
	s_addc_u32 s13, s5, s13
	v_mov_b32_e32 v2, 0
	global_load_dword v2, v2, s[12:13] offset:52
	s_waitcnt vmcnt(0)
	v_subrev_u32_e32 v3, s22, v2
	s_andn2_b64 vcc, exec, s[0:1]
	v_mov_b32_e32 v6, 0
	s_cbranch_vccnz .LBB3_231
.LBB3_233:
	s_ashr_i32 s3, s2, 31
	s_lshl_b64 s[0:1], s[2:3], 2
	s_add_u32 s0, s6, s0
	s_addc_u32 s1, s7, s1
	v_mov_b32_e32 v2, 0
	global_load_dword v2, v2, s[0:1] offset:52
	s_waitcnt vmcnt(0)
	v_subrev_u32_e32 v6, s22, v2
	v_add_u32_e32 v2, v3, v0
	v_cmp_lt_i32_e32 vcc, v2, v6
	s_and_saveexec_b64 s[0:1], vcc
	s_cbranch_execz .LBB3_243
.LBB3_234:
	v_add_u32_e32 v4, 0x100, v2
	v_max_i32_e32 v4, v6, v4
	v_xad_u32 v4, v0, -1, v4
	s_add_i32 s3, s10, s22
	v_sub_u32_e32 v3, v4, v3
	s_movk_i32 s10, 0x1b00
	s_movk_i32 s12, 0x1aff
	v_cmp_gt_u32_e64 s[10:11], s10, v3
	v_cmp_lt_u32_e32 vcc, s12, v3
	s_and_saveexec_b64 s[12:13], vcc
	s_cbranch_execz .LBB3_240
; %bb.235:
	v_and_b32_e32 v4, 0xffffff00, v3
	v_add_u32_e32 v4, v2, v4
	v_cmp_ge_i32_e32 vcc, v4, v2
	s_mov_b64 s[16:17], -1
	s_and_saveexec_b64 s[14:15], vcc
	s_cbranch_execz .LBB3_239
; %bb.236:
	v_lshrrev_b32_e32 v3, 8, v3
	v_add_u32_e32 v7, 1, v3
	v_and_b32_e32 v8, 0x1fffffe, v7
	v_add_u32_e32 v3, 0x100, v2
	s_mov_b64 s[16:17], 0
	v_mov_b32_e32 v10, s3
	v_mov_b32_e32 v9, v8
	v_mov_b64_e32 v[4:5], v[2:3]
.LBB3_237:                              ; =>This Inner Loop Header: Depth=1
	v_add_u32_e32 v9, -2, v9
	v_ashrrev_i32_e32 v13, 31, v5
	v_mov_b32_e32 v12, v5
	v_ashrrev_i32_e32 v15, 31, v4
	v_mov_b32_e32 v14, v4
	v_cmp_eq_u32_e32 vcc, 0, v9
	v_add_u32_e32 v5, 0x200, v5
	v_add_u32_e32 v4, 0x200, v4
	v_lshl_add_u64 v[14:15], v[14:15], 2, s[8:9]
	v_lshl_add_u64 v[12:13], v[12:13], 2, s[8:9]
	s_or_b64 s[16:17], vcc, s[16:17]
	global_store_dword v[14:15], v10, off
	global_store_dword v[12:13], v10, off
	s_andn2_b64 exec, exec, s[16:17]
	s_cbranch_execnz .LBB3_237
; %bb.238:
	s_or_b64 exec, exec, s[16:17]
	v_cmp_ne_u32_e32 vcc, v7, v8
	v_lshl_add_u32 v2, v8, 8, v2
	s_orn2_b64 s[16:17], vcc, exec
.LBB3_239:
	s_or_b64 exec, exec, s[14:15]
	s_andn2_b64 s[10:11], s[10:11], exec
	s_and_b64 s[14:15], s[16:17], exec
	s_or_b64 s[10:11], s[10:11], s[14:15]
.LBB3_240:
	s_or_b64 exec, exec, s[12:13]
	s_and_b64 exec, exec, s[10:11]
	s_cbranch_execz .LBB3_243
; %bb.241:
	s_mov_b64 s[10:11], 0
	v_mov_b32_e32 v4, s3
.LBB3_242:                              ; =>This Inner Loop Header: Depth=1
	v_ashrrev_i32_e32 v3, 31, v2
	v_lshl_add_u64 v[8:9], v[2:3], 2, s[8:9]
	v_add_u32_e32 v2, 0x100, v2
	v_cmp_ge_i32_e32 vcc, v2, v6
	s_or_b64 s[10:11], vcc, s[10:11]
	global_store_dword v[8:9], v4, off
	s_andn2_b64 exec, exec, s[10:11]
	s_cbranch_execnz .LBB3_242
.LBB3_243:
	s_or_b64 exec, exec, s[0:1]
	ds_read_b32 v1, v1 offset:56
	s_waitcnt lgkmcnt(0)
	v_cmp_ne_u32_e32 vcc, 0, v1
	s_cbranch_vccnz .LBB3_259
.LBB3_244:
	s_or_b32 s10, s2, 14
	s_cmp_lt_i32 s10, s23
	s_cselect_b64 s[0:1], -1, 0
	s_cmp_ge_i32 s10, s23
	v_mov_b32_e32 v1, 0
	v_mov_b32_e32 v3, 0
	s_cbranch_scc0 .LBB3_247
; %bb.245:
	s_andn2_b64 vcc, exec, s[0:1]
	s_cbranch_vccz .LBB3_248
.LBB3_246:
	v_add_u32_e32 v2, v3, v0
	v_cmp_lt_i32_e32 vcc, v2, v1
	s_and_saveexec_b64 s[0:1], vcc
	s_cbranch_execnz .LBB3_249
	s_branch .LBB3_258
.LBB3_247:
	s_ashr_i32 s3, s2, 31
	s_lshl_b64 s[12:13], s[2:3], 2
	s_add_u32 s12, s4, s12
	s_addc_u32 s13, s5, s13
	v_mov_b32_e32 v2, 0
	global_load_dword v2, v2, s[12:13] offset:56
	s_waitcnt vmcnt(0)
	v_subrev_u32_e32 v3, s22, v2
	s_andn2_b64 vcc, exec, s[0:1]
	s_cbranch_vccnz .LBB3_246
.LBB3_248:
	s_ashr_i32 s3, s2, 31
	s_lshl_b64 s[0:1], s[2:3], 2
	s_add_u32 s0, s6, s0
	s_addc_u32 s1, s7, s1
	v_mov_b32_e32 v1, 0
	global_load_dword v1, v1, s[0:1] offset:56
	s_waitcnt vmcnt(0)
	v_subrev_u32_e32 v1, s22, v1
	v_add_u32_e32 v2, v3, v0
	v_cmp_lt_i32_e32 vcc, v2, v1
	s_and_saveexec_b64 s[0:1], vcc
	s_cbranch_execz .LBB3_258
.LBB3_249:
	v_add_u32_e32 v4, 0x100, v2
	v_max_i32_e32 v4, v1, v4
	v_xad_u32 v4, v0, -1, v4
	s_add_i32 s3, s10, s22
	v_sub_u32_e32 v3, v4, v3
	s_movk_i32 s10, 0x1b00
	s_movk_i32 s12, 0x1aff
	v_cmp_gt_u32_e64 s[10:11], s10, v3
	v_cmp_lt_u32_e32 vcc, s12, v3
	s_and_saveexec_b64 s[12:13], vcc
	s_cbranch_execz .LBB3_255
; %bb.250:
	v_and_b32_e32 v4, 0xffffff00, v3
	v_add_u32_e32 v4, v2, v4
	v_cmp_ge_i32_e32 vcc, v4, v2
	s_mov_b64 s[16:17], -1
	s_and_saveexec_b64 s[14:15], vcc
	s_cbranch_execz .LBB3_254
; %bb.251:
	v_lshrrev_b32_e32 v3, 8, v3
	v_add_u32_e32 v6, 1, v3
	v_and_b32_e32 v7, 0x1fffffe, v6
	v_add_u32_e32 v3, 0x100, v2
	s_mov_b64 s[16:17], 0
	v_mov_b32_e32 v9, s3
	v_mov_b32_e32 v8, v7
	v_mov_b64_e32 v[4:5], v[2:3]
.LBB3_252:                              ; =>This Inner Loop Header: Depth=1
	v_add_u32_e32 v8, -2, v8
	v_ashrrev_i32_e32 v11, 31, v5
	v_mov_b32_e32 v10, v5
	v_ashrrev_i32_e32 v13, 31, v4
	v_mov_b32_e32 v12, v4
	v_cmp_eq_u32_e32 vcc, 0, v8
	v_add_u32_e32 v5, 0x200, v5
	v_add_u32_e32 v4, 0x200, v4
	v_lshl_add_u64 v[12:13], v[12:13], 2, s[8:9]
	v_lshl_add_u64 v[10:11], v[10:11], 2, s[8:9]
	s_or_b64 s[16:17], vcc, s[16:17]
	global_store_dword v[12:13], v9, off
	global_store_dword v[10:11], v9, off
	s_andn2_b64 exec, exec, s[16:17]
	s_cbranch_execnz .LBB3_252
; %bb.253:
	s_or_b64 exec, exec, s[16:17]
	v_cmp_ne_u32_e32 vcc, v6, v7
	v_lshl_add_u32 v2, v7, 8, v2
	s_orn2_b64 s[16:17], vcc, exec
.LBB3_254:
	s_or_b64 exec, exec, s[14:15]
	s_andn2_b64 s[10:11], s[10:11], exec
	s_and_b64 s[14:15], s[16:17], exec
	s_or_b64 s[10:11], s[10:11], s[14:15]
.LBB3_255:
	s_or_b64 exec, exec, s[12:13]
	s_and_b64 exec, exec, s[10:11]
	s_cbranch_execz .LBB3_258
; %bb.256:
	s_mov_b64 s[10:11], 0
	v_mov_b32_e32 v4, s3
.LBB3_257:                              ; =>This Inner Loop Header: Depth=1
	v_ashrrev_i32_e32 v3, 31, v2
	v_lshl_add_u64 v[6:7], v[2:3], 2, s[8:9]
	v_add_u32_e32 v2, 0x100, v2
	v_cmp_ge_i32_e32 vcc, v2, v1
	s_or_b64 s[10:11], vcc, s[10:11]
	global_store_dword v[6:7], v4, off
	s_andn2_b64 exec, exec, s[10:11]
	s_cbranch_execnz .LBB3_257
.LBB3_258:
	s_or_b64 exec, exec, s[0:1]
.LBB3_259:
	v_mov_b32_e32 v1, 0
	ds_read_b32 v2, v1 offset:60
	s_waitcnt lgkmcnt(0)
	v_cmp_ne_u32_e32 vcc, 0, v2
	s_cbranch_vccnz .LBB3_274
; %bb.260:
	s_or_b32 s10, s2, 15
	s_cmp_lt_i32 s10, s23
	s_cselect_b64 s[0:1], -1, 0
	s_cmp_ge_i32 s10, s23
	s_cbranch_scc0 .LBB3_263
; %bb.261:
	s_andn2_b64 vcc, exec, s[0:1]
	v_mov_b32_e32 v4, 0
	s_cbranch_vccz .LBB3_264
.LBB3_262:
	v_add_u32_e32 v2, v1, v0
	v_cmp_lt_i32_e32 vcc, v2, v4
	s_and_saveexec_b64 s[0:1], vcc
	s_cbranch_execnz .LBB3_265
	s_branch .LBB3_274
.LBB3_263:
	s_ashr_i32 s3, s2, 31
	s_lshl_b64 s[12:13], s[2:3], 2
	s_add_u32 s4, s4, s12
	s_addc_u32 s5, s5, s13
	v_mov_b32_e32 v1, 0
	global_load_dword v1, v1, s[4:5] offset:60
	s_waitcnt vmcnt(0)
	v_subrev_u32_e32 v1, s22, v1
	s_andn2_b64 vcc, exec, s[0:1]
	v_mov_b32_e32 v4, 0
	s_cbranch_vccnz .LBB3_262
.LBB3_264:
	s_ashr_i32 s3, s2, 31
	s_lshl_b64 s[0:1], s[2:3], 2
	s_add_u32 s0, s6, s0
	s_addc_u32 s1, s7, s1
	v_mov_b32_e32 v2, 0
	global_load_dword v2, v2, s[0:1] offset:60
	s_waitcnt vmcnt(0)
	v_subrev_u32_e32 v4, s22, v2
	v_add_u32_e32 v2, v1, v0
	v_cmp_lt_i32_e32 vcc, v2, v4
	s_and_saveexec_b64 s[0:1], vcc
	s_cbranch_execz .LBB3_274
.LBB3_265:
	v_add_u32_e32 v3, 0x100, v2
	v_max_i32_e32 v3, v4, v3
	v_xad_u32 v0, v0, -1, v3
	v_sub_u32_e32 v0, v0, v1
	s_movk_i32 s0, 0x1b00
	s_movk_i32 s2, 0x1aff
	s_add_i32 s10, s10, s22
	v_cmp_gt_u32_e64 s[0:1], s0, v0
	v_cmp_lt_u32_e32 vcc, s2, v0
	s_and_saveexec_b64 s[2:3], vcc
	s_cbranch_execz .LBB3_271
; %bb.266:
	v_and_b32_e32 v1, 0xffffff00, v0
	v_add_u32_e32 v1, v2, v1
	v_cmp_ge_i32_e32 vcc, v1, v2
	s_mov_b64 s[6:7], -1
	s_and_saveexec_b64 s[4:5], vcc
	s_cbranch_execz .LBB3_270
; %bb.267:
	v_lshrrev_b32_e32 v0, 8, v0
	v_add_u32_e32 v5, 1, v0
	v_and_b32_e32 v6, 0x1fffffe, v5
	v_add_u32_e32 v3, 0x100, v2
	s_mov_b64 s[6:7], 0
	v_mov_b32_e32 v8, s10
	v_mov_b32_e32 v7, v6
	v_mov_b64_e32 v[0:1], v[2:3]
.LBB3_268:                              ; =>This Inner Loop Header: Depth=1
	v_add_u32_e32 v7, -2, v7
	v_ashrrev_i32_e32 v11, 31, v1
	v_mov_b32_e32 v10, v1
	v_ashrrev_i32_e32 v13, 31, v0
	v_mov_b32_e32 v12, v0
	v_cmp_eq_u32_e32 vcc, 0, v7
	v_add_u32_e32 v1, 0x200, v1
	v_add_u32_e32 v0, 0x200, v0
	v_lshl_add_u64 v[12:13], v[12:13], 2, s[8:9]
	v_lshl_add_u64 v[10:11], v[10:11], 2, s[8:9]
	s_or_b64 s[6:7], vcc, s[6:7]
	global_store_dword v[12:13], v8, off
	global_store_dword v[10:11], v8, off
	s_andn2_b64 exec, exec, s[6:7]
	s_cbranch_execnz .LBB3_268
; %bb.269:
	s_or_b64 exec, exec, s[6:7]
	v_cmp_ne_u32_e32 vcc, v5, v6
	v_lshl_add_u32 v2, v6, 8, v2
	s_orn2_b64 s[6:7], vcc, exec
.LBB3_270:
	s_or_b64 exec, exec, s[4:5]
	s_andn2_b64 s[0:1], s[0:1], exec
	s_and_b64 s[4:5], s[6:7], exec
	s_or_b64 s[0:1], s[0:1], s[4:5]
.LBB3_271:
	s_or_b64 exec, exec, s[2:3]
	s_and_b64 exec, exec, s[0:1]
	s_cbranch_execz .LBB3_274
; %bb.272:
	s_mov_b64 s[0:1], 0
	v_mov_b32_e32 v0, s10
.LBB3_273:                              ; =>This Inner Loop Header: Depth=1
	v_ashrrev_i32_e32 v3, 31, v2
	v_lshl_add_u64 v[6:7], v[2:3], 2, s[8:9]
	v_add_u32_e32 v2, 0x100, v2
	v_cmp_ge_i32_e32 vcc, v2, v4
	s_or_b64 s[0:1], vcc, s[0:1]
	global_store_dword v[6:7], v0, off
	s_andn2_b64 exec, exec, s[0:1]
	s_cbranch_execnz .LBB3_273
.LBB3_274:
	s_endpgm
	.section	.rodata,"a",@progbits
	.p2align	6, 0x0
	.amdhsa_kernel _ZN9rocsparseL14csr2coo_kernelILj256ELj16EiiEEvT2_PKT1_S4_PS1_21rocsparse_index_base_
		.amdhsa_group_segment_fixed_size 68
		.amdhsa_private_segment_fixed_size 0
		.amdhsa_kernarg_size 36
		.amdhsa_user_sgpr_count 2
		.amdhsa_user_sgpr_dispatch_ptr 0
		.amdhsa_user_sgpr_queue_ptr 0
		.amdhsa_user_sgpr_kernarg_segment_ptr 1
		.amdhsa_user_sgpr_dispatch_id 0
		.amdhsa_user_sgpr_kernarg_preload_length 0
		.amdhsa_user_sgpr_kernarg_preload_offset 0
		.amdhsa_user_sgpr_private_segment_size 0
		.amdhsa_uses_dynamic_stack 0
		.amdhsa_enable_private_segment 0
		.amdhsa_system_sgpr_workgroup_id_x 1
		.amdhsa_system_sgpr_workgroup_id_y 0
		.amdhsa_system_sgpr_workgroup_id_z 0
		.amdhsa_system_sgpr_workgroup_info 0
		.amdhsa_system_vgpr_workitem_id 0
		.amdhsa_next_free_vgpr 16
		.amdhsa_next_free_sgpr 24
		.amdhsa_accum_offset 16
		.amdhsa_reserve_vcc 1
		.amdhsa_float_round_mode_32 0
		.amdhsa_float_round_mode_16_64 0
		.amdhsa_float_denorm_mode_32 3
		.amdhsa_float_denorm_mode_16_64 3
		.amdhsa_dx10_clamp 1
		.amdhsa_ieee_mode 1
		.amdhsa_fp16_overflow 0
		.amdhsa_tg_split 0
		.amdhsa_exception_fp_ieee_invalid_op 0
		.amdhsa_exception_fp_denorm_src 0
		.amdhsa_exception_fp_ieee_div_zero 0
		.amdhsa_exception_fp_ieee_overflow 0
		.amdhsa_exception_fp_ieee_underflow 0
		.amdhsa_exception_fp_ieee_inexact 0
		.amdhsa_exception_int_div_zero 0
	.end_amdhsa_kernel
	.section	.text._ZN9rocsparseL14csr2coo_kernelILj256ELj16EiiEEvT2_PKT1_S4_PS1_21rocsparse_index_base_,"axG",@progbits,_ZN9rocsparseL14csr2coo_kernelILj256ELj16EiiEEvT2_PKT1_S4_PS1_21rocsparse_index_base_,comdat
.Lfunc_end3:
	.size	_ZN9rocsparseL14csr2coo_kernelILj256ELj16EiiEEvT2_PKT1_S4_PS1_21rocsparse_index_base_, .Lfunc_end3-_ZN9rocsparseL14csr2coo_kernelILj256ELj16EiiEEvT2_PKT1_S4_PS1_21rocsparse_index_base_
                                        ; -- End function
	.set _ZN9rocsparseL14csr2coo_kernelILj256ELj16EiiEEvT2_PKT1_S4_PS1_21rocsparse_index_base_.num_vgpr, 16
	.set _ZN9rocsparseL14csr2coo_kernelILj256ELj16EiiEEvT2_PKT1_S4_PS1_21rocsparse_index_base_.num_agpr, 0
	.set _ZN9rocsparseL14csr2coo_kernelILj256ELj16EiiEEvT2_PKT1_S4_PS1_21rocsparse_index_base_.numbered_sgpr, 24
	.set _ZN9rocsparseL14csr2coo_kernelILj256ELj16EiiEEvT2_PKT1_S4_PS1_21rocsparse_index_base_.num_named_barrier, 0
	.set _ZN9rocsparseL14csr2coo_kernelILj256ELj16EiiEEvT2_PKT1_S4_PS1_21rocsparse_index_base_.private_seg_size, 0
	.set _ZN9rocsparseL14csr2coo_kernelILj256ELj16EiiEEvT2_PKT1_S4_PS1_21rocsparse_index_base_.uses_vcc, 1
	.set _ZN9rocsparseL14csr2coo_kernelILj256ELj16EiiEEvT2_PKT1_S4_PS1_21rocsparse_index_base_.uses_flat_scratch, 0
	.set _ZN9rocsparseL14csr2coo_kernelILj256ELj16EiiEEvT2_PKT1_S4_PS1_21rocsparse_index_base_.has_dyn_sized_stack, 0
	.set _ZN9rocsparseL14csr2coo_kernelILj256ELj16EiiEEvT2_PKT1_S4_PS1_21rocsparse_index_base_.has_recursion, 0
	.set _ZN9rocsparseL14csr2coo_kernelILj256ELj16EiiEEvT2_PKT1_S4_PS1_21rocsparse_index_base_.has_indirect_call, 0
	.section	.AMDGPU.csdata,"",@progbits
; Kernel info:
; codeLenInByte = 8552
; TotalNumSgprs: 30
; NumVgprs: 16
; NumAgprs: 0
; TotalNumVgprs: 16
; ScratchSize: 0
; MemoryBound: 0
; FloatMode: 240
; IeeeMode: 1
; LDSByteSize: 68 bytes/workgroup (compile time only)
; SGPRBlocks: 3
; VGPRBlocks: 1
; NumSGPRsForWavesPerEU: 30
; NumVGPRsForWavesPerEU: 16
; AccumOffset: 16
; Occupancy: 8
; WaveLimiterHint : 0
; COMPUTE_PGM_RSRC2:SCRATCH_EN: 0
; COMPUTE_PGM_RSRC2:USER_SGPR: 2
; COMPUTE_PGM_RSRC2:TRAP_HANDLER: 0
; COMPUTE_PGM_RSRC2:TGID_X_EN: 1
; COMPUTE_PGM_RSRC2:TGID_Y_EN: 0
; COMPUTE_PGM_RSRC2:TGID_Z_EN: 0
; COMPUTE_PGM_RSRC2:TIDIG_COMP_CNT: 0
; COMPUTE_PGM_RSRC3_GFX90A:ACCUM_OFFSET: 3
; COMPUTE_PGM_RSRC3_GFX90A:TG_SPLIT: 0
	.section	.text._ZN9rocsparseL14csr2coo_kernelILj256ELj32EiiEEvT2_PKT1_S4_PS1_21rocsparse_index_base_,"axG",@progbits,_ZN9rocsparseL14csr2coo_kernelILj256ELj32EiiEEvT2_PKT1_S4_PS1_21rocsparse_index_base_,comdat
	.globl	_ZN9rocsparseL14csr2coo_kernelILj256ELj32EiiEEvT2_PKT1_S4_PS1_21rocsparse_index_base_ ; -- Begin function _ZN9rocsparseL14csr2coo_kernelILj256ELj32EiiEEvT2_PKT1_S4_PS1_21rocsparse_index_base_
	.p2align	8
	.type	_ZN9rocsparseL14csr2coo_kernelILj256ELj32EiiEEvT2_PKT1_S4_PS1_21rocsparse_index_base_,@function
_ZN9rocsparseL14csr2coo_kernelILj256ELj32EiiEEvT2_PKT1_S4_PS1_21rocsparse_index_base_: ; @_ZN9rocsparseL14csr2coo_kernelILj256ELj32EiiEEvT2_PKT1_S4_PS1_21rocsparse_index_base_
; %bb.0:
	s_load_dword s23, s[0:1], 0x0
	s_load_dwordx4 s[4:7], s[0:1], 0x8
	s_load_dwordx2 s[8:9], s[0:1], 0x18
	s_load_dword s22, s[0:1], 0x20
	v_lshrrev_b32_e32 v1, 5, v0
	s_lshl_b32 s2, s2, 3
	v_or_b32_e32 v4, s2, v1
	v_mov_b32_e32 v2, 1
	v_mov_b32_e32 v6, 0
	s_waitcnt lgkmcnt(0)
	v_cmp_gt_i32_e32 vcc, s23, v4
	v_ashrrev_i32_e32 v5, 31, v4
	v_mov_b32_e32 v8, 0
	ds_write_b32 v6, v2 offset:32
	s_waitcnt lgkmcnt(0)
	s_barrier
	s_and_saveexec_b64 s[0:1], vcc
	s_cbranch_execz .LBB4_2
; %bb.1:
	v_lshl_add_u64 v[2:3], v[4:5], 2, s[4:5]
	global_load_dword v2, v[2:3], off
	s_waitcnt vmcnt(0)
	v_subrev_u32_e32 v8, s22, v2
.LBB4_2:
	s_or_b64 exec, exec, s[0:1]
	s_and_saveexec_b64 s[0:1], vcc
	s_cbranch_execz .LBB4_4
; %bb.3:
	v_lshl_add_u64 v[2:3], v[4:5], 2, s[6:7]
	global_load_dword v2, v[2:3], off
	s_waitcnt vmcnt(0)
	v_subrev_u32_e32 v6, s22, v2
.LBB4_4:
	s_or_b64 exec, exec, s[0:1]
	v_sub_u32_e32 v2, v6, v8
	s_movk_i32 s0, 0x101
	v_cmp_gt_u32_e32 vcc, s0, v2
	s_movk_i32 s0, 0x100
	v_cmp_lt_u32_e64 s[0:1], s0, v2
	s_and_saveexec_b64 s[10:11], s[0:1]
	s_xor_b64 s[0:1], exec, s[10:11]
; %bb.5:
	v_mov_b32_e32 v2, 0
	ds_write_b32 v2, v2 offset:32
                                        ; implicit-def: $vgpr8
                                        ; implicit-def: $vgpr6
                                        ; implicit-def: $vgpr4
; %bb.6:
	s_andn2_saveexec_b64 s[10:11], s[0:1]
	s_cbranch_execz .LBB4_18
; %bb.7:
	v_and_b32_e32 v5, 31, v0
	v_add_u32_e32 v2, v8, v5
	v_cmp_lt_i32_e64 s[0:1], v2, v6
	s_and_saveexec_b64 s[12:13], s[0:1]
	s_cbranch_execz .LBB4_17
; %bb.8:
	v_add_u32_e32 v3, 32, v2
	v_add_u32_e32 v7, s22, v4
	v_max_i32_e32 v4, v6, v3
	v_xad_u32 v4, v8, -1, v4
	v_sub_u32_e32 v4, v4, v5
	s_movk_i32 s0, 0x360
	v_cmp_gt_u32_e64 s[14:15], s0, v4
	s_movk_i32 s0, 0x35f
	v_cmp_lt_u32_e64 s[0:1], s0, v4
	s_and_saveexec_b64 s[16:17], s[0:1]
	s_cbranch_execz .LBB4_14
; %bb.9:
	v_and_b32_e32 v5, 0xffffffe0, v4
	v_add_u32_e32 v5, v2, v5
	v_cmp_ge_i32_e64 s[0:1], v5, v2
	s_mov_b64 s[20:21], -1
	s_and_saveexec_b64 s[18:19], s[0:1]
	s_cbranch_execz .LBB4_13
; %bb.10:
	v_lshrrev_b32_e32 v4, 5, v4
	v_add_u32_e32 v8, 1, v4
	v_and_b32_e32 v9, 0xffffffe, v8
	s_mov_b64 s[20:21], 0
	v_mov_b32_e32 v10, v9
	v_mov_b64_e32 v[4:5], v[2:3]
.LBB4_11:                               ; =>This Inner Loop Header: Depth=1
	v_add_u32_e32 v10, -2, v10
	v_ashrrev_i32_e32 v13, 31, v5
	v_mov_b32_e32 v12, v5
	v_ashrrev_i32_e32 v15, 31, v4
	v_mov_b32_e32 v14, v4
	v_cmp_eq_u32_e64 s[0:1], 0, v10
	v_add_u32_e32 v5, 64, v5
	v_add_u32_e32 v4, 64, v4
	v_lshl_add_u64 v[14:15], v[14:15], 2, s[8:9]
	v_lshl_add_u64 v[12:13], v[12:13], 2, s[8:9]
	s_or_b64 s[20:21], s[0:1], s[20:21]
	global_store_dword v[14:15], v7, off
	global_store_dword v[12:13], v7, off
	s_andn2_b64 exec, exec, s[20:21]
	s_cbranch_execnz .LBB4_11
; %bb.12:
	s_or_b64 exec, exec, s[20:21]
	v_cmp_ne_u32_e64 s[0:1], v8, v9
	v_lshl_add_u32 v2, v9, 5, v2
	s_orn2_b64 s[20:21], s[0:1], exec
.LBB4_13:
	s_or_b64 exec, exec, s[18:19]
	s_andn2_b64 s[0:1], s[14:15], exec
	s_and_b64 s[14:15], s[20:21], exec
	s_or_b64 s[14:15], s[0:1], s[14:15]
.LBB4_14:
	s_or_b64 exec, exec, s[16:17]
	s_and_b64 exec, exec, s[14:15]
	s_cbranch_execz .LBB4_17
; %bb.15:
	s_mov_b64 s[14:15], 0
.LBB4_16:                               ; =>This Inner Loop Header: Depth=1
	v_ashrrev_i32_e32 v3, 31, v2
	v_lshl_add_u64 v[4:5], v[2:3], 2, s[8:9]
	v_add_u32_e32 v2, 32, v2
	v_cmp_ge_i32_e64 s[0:1], v2, v6
	s_or_b64 s[14:15], s[0:1], s[14:15]
	global_store_dword v[4:5], v7, off
	s_andn2_b64 exec, exec, s[14:15]
	s_cbranch_execnz .LBB4_16
.LBB4_17:
	s_or_b64 exec, exec, s[12:13]
.LBB4_18:
	s_or_b64 exec, exec, s[10:11]
	v_cndmask_b32_e64 v2, 0, 1, vcc
	v_lshlrev_b32_e32 v1, 2, v1
	ds_write_b32 v1, v2
	v_mov_b32_e32 v1, 0
	s_waitcnt lgkmcnt(0)
	s_barrier
	ds_read_b32 v2, v1 offset:32
	s_waitcnt lgkmcnt(0)
	v_cmp_ne_u32_e32 vcc, 0, v2
	s_cbranch_vccnz .LBB4_146
; %bb.19:
	ds_read_b32 v1, v1
	s_waitcnt lgkmcnt(0)
	v_cmp_ne_u32_e32 vcc, 0, v1
	s_cbranch_vccnz .LBB4_35
; %bb.20:
	s_cmp_lt_i32 s2, s23
	s_cselect_b64 s[0:1], -1, 0
	s_cmp_ge_i32 s2, s23
	v_mov_b32_e32 v1, 0
	v_mov_b32_e32 v3, 0
	s_cbranch_scc0 .LBB4_23
; %bb.21:
	s_andn2_b64 vcc, exec, s[0:1]
	s_cbranch_vccz .LBB4_24
.LBB4_22:
	v_add_u32_e32 v2, v3, v0
	v_cmp_lt_i32_e32 vcc, v2, v1
	s_and_saveexec_b64 s[0:1], vcc
	s_cbranch_execnz .LBB4_25
	s_branch .LBB4_34
.LBB4_23:
	s_ashr_i32 s3, s2, 31
	s_lshl_b64 s[10:11], s[2:3], 2
	s_add_u32 s10, s4, s10
	s_addc_u32 s11, s5, s11
	v_mov_b32_e32 v2, 0
	global_load_dword v2, v2, s[10:11]
	s_waitcnt vmcnt(0)
	v_subrev_u32_e32 v3, s22, v2
	s_andn2_b64 vcc, exec, s[0:1]
	s_cbranch_vccnz .LBB4_22
.LBB4_24:
	s_ashr_i32 s3, s2, 31
	s_lshl_b64 s[0:1], s[2:3], 2
	s_add_u32 s0, s6, s0
	s_addc_u32 s1, s7, s1
	v_mov_b32_e32 v1, 0
	global_load_dword v1, v1, s[0:1]
	s_waitcnt vmcnt(0)
	v_subrev_u32_e32 v1, s22, v1
	v_add_u32_e32 v2, v3, v0
	v_cmp_lt_i32_e32 vcc, v2, v1
	s_and_saveexec_b64 s[0:1], vcc
	s_cbranch_execz .LBB4_34
.LBB4_25:
	v_add_u32_e32 v4, 0x100, v2
	v_max_i32_e32 v4, v1, v4
	v_xad_u32 v4, v0, -1, v4
	v_sub_u32_e32 v3, v4, v3
	s_movk_i32 s10, 0x1b00
	s_movk_i32 s12, 0x1aff
	s_add_i32 s3, s2, s22
	v_cmp_gt_u32_e64 s[10:11], s10, v3
	v_cmp_lt_u32_e32 vcc, s12, v3
	s_and_saveexec_b64 s[12:13], vcc
	s_cbranch_execz .LBB4_31
; %bb.26:
	v_and_b32_e32 v4, 0xffffff00, v3
	v_add_u32_e32 v4, v2, v4
	v_cmp_ge_i32_e32 vcc, v4, v2
	s_mov_b64 s[16:17], -1
	s_and_saveexec_b64 s[14:15], vcc
	s_cbranch_execz .LBB4_30
; %bb.27:
	v_lshrrev_b32_e32 v3, 8, v3
	v_add_u32_e32 v6, 1, v3
	v_and_b32_e32 v7, 0x1fffffe, v6
	v_add_u32_e32 v3, 0x100, v2
	s_mov_b64 s[16:17], 0
	v_mov_b32_e32 v9, s3
	v_mov_b32_e32 v8, v7
	v_mov_b64_e32 v[4:5], v[2:3]
.LBB4_28:                               ; =>This Inner Loop Header: Depth=1
	v_add_u32_e32 v8, -2, v8
	v_ashrrev_i32_e32 v11, 31, v5
	v_mov_b32_e32 v10, v5
	v_ashrrev_i32_e32 v13, 31, v4
	v_mov_b32_e32 v12, v4
	v_cmp_eq_u32_e32 vcc, 0, v8
	v_add_u32_e32 v5, 0x200, v5
	v_add_u32_e32 v4, 0x200, v4
	v_lshl_add_u64 v[12:13], v[12:13], 2, s[8:9]
	v_lshl_add_u64 v[10:11], v[10:11], 2, s[8:9]
	s_or_b64 s[16:17], vcc, s[16:17]
	global_store_dword v[12:13], v9, off
	global_store_dword v[10:11], v9, off
	s_andn2_b64 exec, exec, s[16:17]
	s_cbranch_execnz .LBB4_28
; %bb.29:
	s_or_b64 exec, exec, s[16:17]
	v_cmp_ne_u32_e32 vcc, v6, v7
	v_lshl_add_u32 v2, v7, 8, v2
	s_orn2_b64 s[16:17], vcc, exec
.LBB4_30:
	s_or_b64 exec, exec, s[14:15]
	s_andn2_b64 s[10:11], s[10:11], exec
	s_and_b64 s[14:15], s[16:17], exec
	s_or_b64 s[10:11], s[10:11], s[14:15]
.LBB4_31:
	s_or_b64 exec, exec, s[12:13]
	s_and_b64 exec, exec, s[10:11]
	s_cbranch_execz .LBB4_34
; %bb.32:
	s_mov_b64 s[10:11], 0
	v_mov_b32_e32 v4, s3
.LBB4_33:                               ; =>This Inner Loop Header: Depth=1
	v_ashrrev_i32_e32 v3, 31, v2
	v_lshl_add_u64 v[6:7], v[2:3], 2, s[8:9]
	v_add_u32_e32 v2, 0x100, v2
	v_cmp_ge_i32_e32 vcc, v2, v1
	s_or_b64 s[10:11], vcc, s[10:11]
	global_store_dword v[6:7], v4, off
	s_andn2_b64 exec, exec, s[10:11]
	s_cbranch_execnz .LBB4_33
.LBB4_34:
	s_or_b64 exec, exec, s[0:1]
.LBB4_35:
	v_mov_b32_e32 v1, 0
	ds_read_b32 v2, v1 offset:4
	s_waitcnt lgkmcnt(0)
	v_cmp_ne_u32_e32 vcc, 0, v2
	s_cbranch_vccz .LBB4_37
; %bb.36:
	ds_read_b32 v1, v1 offset:8
	s_waitcnt lgkmcnt(0)
	v_cmp_ne_u32_e32 vcc, 0, v1
	s_cbranch_vccnz .LBB4_67
	s_branch .LBB4_52
.LBB4_37:
	s_or_b32 s10, s2, 1
	s_cmp_lt_i32 s10, s23
	s_cselect_b64 s[0:1], -1, 0
	s_cmp_ge_i32 s10, s23
	v_mov_b32_e32 v3, 0
	s_cbranch_scc0 .LBB4_40
; %bb.38:
	s_andn2_b64 vcc, exec, s[0:1]
	v_mov_b32_e32 v6, 0
	s_cbranch_vccz .LBB4_41
.LBB4_39:
	v_add_u32_e32 v2, v3, v0
	v_cmp_lt_i32_e32 vcc, v2, v6
	s_and_saveexec_b64 s[0:1], vcc
	s_cbranch_execnz .LBB4_42
	s_branch .LBB4_51
.LBB4_40:
	s_ashr_i32 s3, s2, 31
	s_lshl_b64 s[12:13], s[2:3], 2
	s_add_u32 s12, s4, s12
	s_addc_u32 s13, s5, s13
	v_mov_b32_e32 v2, 0
	global_load_dword v2, v2, s[12:13] offset:4
	s_waitcnt vmcnt(0)
	v_subrev_u32_e32 v3, s22, v2
	s_andn2_b64 vcc, exec, s[0:1]
	v_mov_b32_e32 v6, 0
	s_cbranch_vccnz .LBB4_39
.LBB4_41:
	s_ashr_i32 s3, s2, 31
	s_lshl_b64 s[0:1], s[2:3], 2
	s_add_u32 s0, s6, s0
	s_addc_u32 s1, s7, s1
	v_mov_b32_e32 v2, 0
	global_load_dword v2, v2, s[0:1] offset:4
	s_waitcnt vmcnt(0)
	v_subrev_u32_e32 v6, s22, v2
	v_add_u32_e32 v2, v3, v0
	v_cmp_lt_i32_e32 vcc, v2, v6
	s_and_saveexec_b64 s[0:1], vcc
	s_cbranch_execz .LBB4_51
.LBB4_42:
	v_add_u32_e32 v4, 0x100, v2
	v_max_i32_e32 v4, v6, v4
	v_xad_u32 v4, v0, -1, v4
	s_add_i32 s3, s10, s22
	v_sub_u32_e32 v3, v4, v3
	s_movk_i32 s10, 0x1b00
	s_movk_i32 s12, 0x1aff
	v_cmp_gt_u32_e64 s[10:11], s10, v3
	v_cmp_lt_u32_e32 vcc, s12, v3
	s_and_saveexec_b64 s[12:13], vcc
	s_cbranch_execz .LBB4_48
; %bb.43:
	v_and_b32_e32 v4, 0xffffff00, v3
	v_add_u32_e32 v4, v2, v4
	v_cmp_ge_i32_e32 vcc, v4, v2
	s_mov_b64 s[16:17], -1
	s_and_saveexec_b64 s[14:15], vcc
	s_cbranch_execz .LBB4_47
; %bb.44:
	v_lshrrev_b32_e32 v3, 8, v3
	v_add_u32_e32 v7, 1, v3
	v_and_b32_e32 v8, 0x1fffffe, v7
	v_add_u32_e32 v3, 0x100, v2
	s_mov_b64 s[16:17], 0
	v_mov_b32_e32 v10, s3
	v_mov_b32_e32 v9, v8
	v_mov_b64_e32 v[4:5], v[2:3]
.LBB4_45:                               ; =>This Inner Loop Header: Depth=1
	v_add_u32_e32 v9, -2, v9
	v_ashrrev_i32_e32 v13, 31, v5
	v_mov_b32_e32 v12, v5
	v_ashrrev_i32_e32 v15, 31, v4
	v_mov_b32_e32 v14, v4
	v_cmp_eq_u32_e32 vcc, 0, v9
	v_add_u32_e32 v5, 0x200, v5
	v_add_u32_e32 v4, 0x200, v4
	v_lshl_add_u64 v[14:15], v[14:15], 2, s[8:9]
	v_lshl_add_u64 v[12:13], v[12:13], 2, s[8:9]
	s_or_b64 s[16:17], vcc, s[16:17]
	global_store_dword v[14:15], v10, off
	global_store_dword v[12:13], v10, off
	s_andn2_b64 exec, exec, s[16:17]
	s_cbranch_execnz .LBB4_45
; %bb.46:
	s_or_b64 exec, exec, s[16:17]
	v_cmp_ne_u32_e32 vcc, v7, v8
	v_lshl_add_u32 v2, v8, 8, v2
	s_orn2_b64 s[16:17], vcc, exec
.LBB4_47:
	s_or_b64 exec, exec, s[14:15]
	s_andn2_b64 s[10:11], s[10:11], exec
	s_and_b64 s[14:15], s[16:17], exec
	s_or_b64 s[10:11], s[10:11], s[14:15]
.LBB4_48:
	s_or_b64 exec, exec, s[12:13]
	s_and_b64 exec, exec, s[10:11]
	s_cbranch_execz .LBB4_51
; %bb.49:
	s_mov_b64 s[10:11], 0
	v_mov_b32_e32 v4, s3
.LBB4_50:                               ; =>This Inner Loop Header: Depth=1
	v_ashrrev_i32_e32 v3, 31, v2
	v_lshl_add_u64 v[8:9], v[2:3], 2, s[8:9]
	v_add_u32_e32 v2, 0x100, v2
	v_cmp_ge_i32_e32 vcc, v2, v6
	s_or_b64 s[10:11], vcc, s[10:11]
	global_store_dword v[8:9], v4, off
	s_andn2_b64 exec, exec, s[10:11]
	s_cbranch_execnz .LBB4_50
.LBB4_51:
	s_or_b64 exec, exec, s[0:1]
	ds_read_b32 v1, v1 offset:8
	s_waitcnt lgkmcnt(0)
	v_cmp_ne_u32_e32 vcc, 0, v1
	s_cbranch_vccnz .LBB4_67
.LBB4_52:
	s_or_b32 s10, s2, 2
	s_cmp_lt_i32 s10, s23
	s_cselect_b64 s[0:1], -1, 0
	s_cmp_ge_i32 s10, s23
	v_mov_b32_e32 v1, 0
	v_mov_b32_e32 v3, 0
	s_cbranch_scc0 .LBB4_55
; %bb.53:
	s_andn2_b64 vcc, exec, s[0:1]
	s_cbranch_vccz .LBB4_56
.LBB4_54:
	v_add_u32_e32 v2, v3, v0
	v_cmp_lt_i32_e32 vcc, v2, v1
	s_and_saveexec_b64 s[0:1], vcc
	s_cbranch_execnz .LBB4_57
	s_branch .LBB4_66
.LBB4_55:
	s_ashr_i32 s3, s2, 31
	s_lshl_b64 s[12:13], s[2:3], 2
	s_add_u32 s12, s4, s12
	s_addc_u32 s13, s5, s13
	v_mov_b32_e32 v2, 0
	global_load_dword v2, v2, s[12:13] offset:8
	s_waitcnt vmcnt(0)
	v_subrev_u32_e32 v3, s22, v2
	s_andn2_b64 vcc, exec, s[0:1]
	s_cbranch_vccnz .LBB4_54
.LBB4_56:
	s_ashr_i32 s3, s2, 31
	s_lshl_b64 s[0:1], s[2:3], 2
	s_add_u32 s0, s6, s0
	s_addc_u32 s1, s7, s1
	v_mov_b32_e32 v1, 0
	global_load_dword v1, v1, s[0:1] offset:8
	s_waitcnt vmcnt(0)
	v_subrev_u32_e32 v1, s22, v1
	v_add_u32_e32 v2, v3, v0
	v_cmp_lt_i32_e32 vcc, v2, v1
	s_and_saveexec_b64 s[0:1], vcc
	s_cbranch_execz .LBB4_66
.LBB4_57:
	v_add_u32_e32 v4, 0x100, v2
	v_max_i32_e32 v4, v1, v4
	v_xad_u32 v4, v0, -1, v4
	s_add_i32 s3, s10, s22
	v_sub_u32_e32 v3, v4, v3
	s_movk_i32 s10, 0x1b00
	s_movk_i32 s12, 0x1aff
	v_cmp_gt_u32_e64 s[10:11], s10, v3
	v_cmp_lt_u32_e32 vcc, s12, v3
	s_and_saveexec_b64 s[12:13], vcc
	s_cbranch_execz .LBB4_63
; %bb.58:
	v_and_b32_e32 v4, 0xffffff00, v3
	v_add_u32_e32 v4, v2, v4
	v_cmp_ge_i32_e32 vcc, v4, v2
	s_mov_b64 s[16:17], -1
	s_and_saveexec_b64 s[14:15], vcc
	s_cbranch_execz .LBB4_62
; %bb.59:
	v_lshrrev_b32_e32 v3, 8, v3
	v_add_u32_e32 v6, 1, v3
	v_and_b32_e32 v7, 0x1fffffe, v6
	v_add_u32_e32 v3, 0x100, v2
	s_mov_b64 s[16:17], 0
	v_mov_b32_e32 v9, s3
	v_mov_b32_e32 v8, v7
	v_mov_b64_e32 v[4:5], v[2:3]
.LBB4_60:                               ; =>This Inner Loop Header: Depth=1
	v_add_u32_e32 v8, -2, v8
	v_ashrrev_i32_e32 v11, 31, v5
	v_mov_b32_e32 v10, v5
	v_ashrrev_i32_e32 v13, 31, v4
	v_mov_b32_e32 v12, v4
	v_cmp_eq_u32_e32 vcc, 0, v8
	v_add_u32_e32 v5, 0x200, v5
	v_add_u32_e32 v4, 0x200, v4
	v_lshl_add_u64 v[12:13], v[12:13], 2, s[8:9]
	v_lshl_add_u64 v[10:11], v[10:11], 2, s[8:9]
	s_or_b64 s[16:17], vcc, s[16:17]
	global_store_dword v[12:13], v9, off
	global_store_dword v[10:11], v9, off
	s_andn2_b64 exec, exec, s[16:17]
	s_cbranch_execnz .LBB4_60
; %bb.61:
	s_or_b64 exec, exec, s[16:17]
	v_cmp_ne_u32_e32 vcc, v6, v7
	v_lshl_add_u32 v2, v7, 8, v2
	s_orn2_b64 s[16:17], vcc, exec
.LBB4_62:
	s_or_b64 exec, exec, s[14:15]
	s_andn2_b64 s[10:11], s[10:11], exec
	s_and_b64 s[14:15], s[16:17], exec
	s_or_b64 s[10:11], s[10:11], s[14:15]
.LBB4_63:
	s_or_b64 exec, exec, s[12:13]
	s_and_b64 exec, exec, s[10:11]
	s_cbranch_execz .LBB4_66
; %bb.64:
	s_mov_b64 s[10:11], 0
	v_mov_b32_e32 v4, s3
.LBB4_65:                               ; =>This Inner Loop Header: Depth=1
	v_ashrrev_i32_e32 v3, 31, v2
	v_lshl_add_u64 v[6:7], v[2:3], 2, s[8:9]
	v_add_u32_e32 v2, 0x100, v2
	v_cmp_ge_i32_e32 vcc, v2, v1
	s_or_b64 s[10:11], vcc, s[10:11]
	global_store_dword v[6:7], v4, off
	s_andn2_b64 exec, exec, s[10:11]
	s_cbranch_execnz .LBB4_65
.LBB4_66:
	s_or_b64 exec, exec, s[0:1]
.LBB4_67:
	v_mov_b32_e32 v1, 0
	ds_read_b32 v2, v1 offset:12
	s_waitcnt lgkmcnt(0)
	v_cmp_ne_u32_e32 vcc, 0, v2
	s_cbranch_vccz .LBB4_69
; %bb.68:
	ds_read_b32 v1, v1 offset:16
	s_waitcnt lgkmcnt(0)
	v_cmp_ne_u32_e32 vcc, 0, v1
	s_cbranch_vccnz .LBB4_99
	s_branch .LBB4_84
.LBB4_69:
	s_or_b32 s10, s2, 3
	s_cmp_lt_i32 s10, s23
	s_cselect_b64 s[0:1], -1, 0
	s_cmp_ge_i32 s10, s23
	v_mov_b32_e32 v3, 0
	s_cbranch_scc0 .LBB4_72
; %bb.70:
	s_andn2_b64 vcc, exec, s[0:1]
	v_mov_b32_e32 v6, 0
	s_cbranch_vccz .LBB4_73
.LBB4_71:
	v_add_u32_e32 v2, v3, v0
	v_cmp_lt_i32_e32 vcc, v2, v6
	s_and_saveexec_b64 s[0:1], vcc
	s_cbranch_execnz .LBB4_74
	s_branch .LBB4_83
.LBB4_72:
	s_ashr_i32 s3, s2, 31
	s_lshl_b64 s[12:13], s[2:3], 2
	s_add_u32 s12, s4, s12
	s_addc_u32 s13, s5, s13
	v_mov_b32_e32 v2, 0
	global_load_dword v2, v2, s[12:13] offset:12
	s_waitcnt vmcnt(0)
	v_subrev_u32_e32 v3, s22, v2
	s_andn2_b64 vcc, exec, s[0:1]
	v_mov_b32_e32 v6, 0
	s_cbranch_vccnz .LBB4_71
.LBB4_73:
	s_ashr_i32 s3, s2, 31
	s_lshl_b64 s[0:1], s[2:3], 2
	s_add_u32 s0, s6, s0
	s_addc_u32 s1, s7, s1
	v_mov_b32_e32 v2, 0
	global_load_dword v2, v2, s[0:1] offset:12
	s_waitcnt vmcnt(0)
	v_subrev_u32_e32 v6, s22, v2
	v_add_u32_e32 v2, v3, v0
	v_cmp_lt_i32_e32 vcc, v2, v6
	s_and_saveexec_b64 s[0:1], vcc
	s_cbranch_execz .LBB4_83
.LBB4_74:
	v_add_u32_e32 v4, 0x100, v2
	v_max_i32_e32 v4, v6, v4
	v_xad_u32 v4, v0, -1, v4
	s_add_i32 s3, s10, s22
	v_sub_u32_e32 v3, v4, v3
	s_movk_i32 s10, 0x1b00
	s_movk_i32 s12, 0x1aff
	v_cmp_gt_u32_e64 s[10:11], s10, v3
	v_cmp_lt_u32_e32 vcc, s12, v3
	s_and_saveexec_b64 s[12:13], vcc
	s_cbranch_execz .LBB4_80
; %bb.75:
	v_and_b32_e32 v4, 0xffffff00, v3
	v_add_u32_e32 v4, v2, v4
	v_cmp_ge_i32_e32 vcc, v4, v2
	s_mov_b64 s[16:17], -1
	s_and_saveexec_b64 s[14:15], vcc
	s_cbranch_execz .LBB4_79
; %bb.76:
	v_lshrrev_b32_e32 v3, 8, v3
	v_add_u32_e32 v7, 1, v3
	v_and_b32_e32 v8, 0x1fffffe, v7
	v_add_u32_e32 v3, 0x100, v2
	s_mov_b64 s[16:17], 0
	v_mov_b32_e32 v10, s3
	v_mov_b32_e32 v9, v8
	v_mov_b64_e32 v[4:5], v[2:3]
.LBB4_77:                               ; =>This Inner Loop Header: Depth=1
	v_add_u32_e32 v9, -2, v9
	v_ashrrev_i32_e32 v13, 31, v5
	v_mov_b32_e32 v12, v5
	v_ashrrev_i32_e32 v15, 31, v4
	v_mov_b32_e32 v14, v4
	v_cmp_eq_u32_e32 vcc, 0, v9
	v_add_u32_e32 v5, 0x200, v5
	v_add_u32_e32 v4, 0x200, v4
	v_lshl_add_u64 v[14:15], v[14:15], 2, s[8:9]
	v_lshl_add_u64 v[12:13], v[12:13], 2, s[8:9]
	s_or_b64 s[16:17], vcc, s[16:17]
	global_store_dword v[14:15], v10, off
	global_store_dword v[12:13], v10, off
	s_andn2_b64 exec, exec, s[16:17]
	s_cbranch_execnz .LBB4_77
; %bb.78:
	s_or_b64 exec, exec, s[16:17]
	v_cmp_ne_u32_e32 vcc, v7, v8
	v_lshl_add_u32 v2, v8, 8, v2
	s_orn2_b64 s[16:17], vcc, exec
.LBB4_79:
	s_or_b64 exec, exec, s[14:15]
	s_andn2_b64 s[10:11], s[10:11], exec
	s_and_b64 s[14:15], s[16:17], exec
	s_or_b64 s[10:11], s[10:11], s[14:15]
.LBB4_80:
	s_or_b64 exec, exec, s[12:13]
	s_and_b64 exec, exec, s[10:11]
	s_cbranch_execz .LBB4_83
; %bb.81:
	s_mov_b64 s[10:11], 0
	v_mov_b32_e32 v4, s3
.LBB4_82:                               ; =>This Inner Loop Header: Depth=1
	v_ashrrev_i32_e32 v3, 31, v2
	v_lshl_add_u64 v[8:9], v[2:3], 2, s[8:9]
	v_add_u32_e32 v2, 0x100, v2
	v_cmp_ge_i32_e32 vcc, v2, v6
	s_or_b64 s[10:11], vcc, s[10:11]
	global_store_dword v[8:9], v4, off
	s_andn2_b64 exec, exec, s[10:11]
	s_cbranch_execnz .LBB4_82
.LBB4_83:
	s_or_b64 exec, exec, s[0:1]
	ds_read_b32 v1, v1 offset:16
	s_waitcnt lgkmcnt(0)
	v_cmp_ne_u32_e32 vcc, 0, v1
	s_cbranch_vccnz .LBB4_99
.LBB4_84:
	s_or_b32 s10, s2, 4
	s_cmp_lt_i32 s10, s23
	s_cselect_b64 s[0:1], -1, 0
	s_cmp_ge_i32 s10, s23
	v_mov_b32_e32 v1, 0
	v_mov_b32_e32 v3, 0
	s_cbranch_scc0 .LBB4_87
; %bb.85:
	s_andn2_b64 vcc, exec, s[0:1]
	s_cbranch_vccz .LBB4_88
.LBB4_86:
	v_add_u32_e32 v2, v3, v0
	v_cmp_lt_i32_e32 vcc, v2, v1
	s_and_saveexec_b64 s[0:1], vcc
	s_cbranch_execnz .LBB4_89
	s_branch .LBB4_98
.LBB4_87:
	s_ashr_i32 s3, s2, 31
	s_lshl_b64 s[12:13], s[2:3], 2
	s_add_u32 s12, s4, s12
	s_addc_u32 s13, s5, s13
	v_mov_b32_e32 v2, 0
	global_load_dword v2, v2, s[12:13] offset:16
	s_waitcnt vmcnt(0)
	v_subrev_u32_e32 v3, s22, v2
	s_andn2_b64 vcc, exec, s[0:1]
	s_cbranch_vccnz .LBB4_86
.LBB4_88:
	s_ashr_i32 s3, s2, 31
	s_lshl_b64 s[0:1], s[2:3], 2
	s_add_u32 s0, s6, s0
	s_addc_u32 s1, s7, s1
	v_mov_b32_e32 v1, 0
	global_load_dword v1, v1, s[0:1] offset:16
	s_waitcnt vmcnt(0)
	v_subrev_u32_e32 v1, s22, v1
	v_add_u32_e32 v2, v3, v0
	v_cmp_lt_i32_e32 vcc, v2, v1
	s_and_saveexec_b64 s[0:1], vcc
	s_cbranch_execz .LBB4_98
.LBB4_89:
	v_add_u32_e32 v4, 0x100, v2
	v_max_i32_e32 v4, v1, v4
	v_xad_u32 v4, v0, -1, v4
	s_add_i32 s3, s10, s22
	v_sub_u32_e32 v3, v4, v3
	s_movk_i32 s10, 0x1b00
	s_movk_i32 s12, 0x1aff
	v_cmp_gt_u32_e64 s[10:11], s10, v3
	v_cmp_lt_u32_e32 vcc, s12, v3
	s_and_saveexec_b64 s[12:13], vcc
	s_cbranch_execz .LBB4_95
; %bb.90:
	v_and_b32_e32 v4, 0xffffff00, v3
	v_add_u32_e32 v4, v2, v4
	v_cmp_ge_i32_e32 vcc, v4, v2
	s_mov_b64 s[16:17], -1
	s_and_saveexec_b64 s[14:15], vcc
	s_cbranch_execz .LBB4_94
; %bb.91:
	v_lshrrev_b32_e32 v3, 8, v3
	v_add_u32_e32 v6, 1, v3
	v_and_b32_e32 v7, 0x1fffffe, v6
	v_add_u32_e32 v3, 0x100, v2
	s_mov_b64 s[16:17], 0
	v_mov_b32_e32 v9, s3
	v_mov_b32_e32 v8, v7
	v_mov_b64_e32 v[4:5], v[2:3]
.LBB4_92:                               ; =>This Inner Loop Header: Depth=1
	v_add_u32_e32 v8, -2, v8
	v_ashrrev_i32_e32 v11, 31, v5
	v_mov_b32_e32 v10, v5
	v_ashrrev_i32_e32 v13, 31, v4
	v_mov_b32_e32 v12, v4
	v_cmp_eq_u32_e32 vcc, 0, v8
	v_add_u32_e32 v5, 0x200, v5
	v_add_u32_e32 v4, 0x200, v4
	v_lshl_add_u64 v[12:13], v[12:13], 2, s[8:9]
	v_lshl_add_u64 v[10:11], v[10:11], 2, s[8:9]
	s_or_b64 s[16:17], vcc, s[16:17]
	global_store_dword v[12:13], v9, off
	global_store_dword v[10:11], v9, off
	s_andn2_b64 exec, exec, s[16:17]
	s_cbranch_execnz .LBB4_92
; %bb.93:
	s_or_b64 exec, exec, s[16:17]
	v_cmp_ne_u32_e32 vcc, v6, v7
	v_lshl_add_u32 v2, v7, 8, v2
	s_orn2_b64 s[16:17], vcc, exec
.LBB4_94:
	s_or_b64 exec, exec, s[14:15]
	s_andn2_b64 s[10:11], s[10:11], exec
	s_and_b64 s[14:15], s[16:17], exec
	s_or_b64 s[10:11], s[10:11], s[14:15]
.LBB4_95:
	s_or_b64 exec, exec, s[12:13]
	s_and_b64 exec, exec, s[10:11]
	s_cbranch_execz .LBB4_98
; %bb.96:
	s_mov_b64 s[10:11], 0
	v_mov_b32_e32 v4, s3
.LBB4_97:                               ; =>This Inner Loop Header: Depth=1
	v_ashrrev_i32_e32 v3, 31, v2
	v_lshl_add_u64 v[6:7], v[2:3], 2, s[8:9]
	v_add_u32_e32 v2, 0x100, v2
	v_cmp_ge_i32_e32 vcc, v2, v1
	s_or_b64 s[10:11], vcc, s[10:11]
	global_store_dword v[6:7], v4, off
	s_andn2_b64 exec, exec, s[10:11]
	s_cbranch_execnz .LBB4_97
.LBB4_98:
	s_or_b64 exec, exec, s[0:1]
.LBB4_99:
	v_mov_b32_e32 v1, 0
	ds_read_b32 v2, v1 offset:20
	s_waitcnt lgkmcnt(0)
	v_cmp_ne_u32_e32 vcc, 0, v2
	s_cbranch_vccz .LBB4_101
; %bb.100:
	ds_read_b32 v1, v1 offset:24
	s_waitcnt lgkmcnt(0)
	v_cmp_ne_u32_e32 vcc, 0, v1
	s_cbranch_vccnz .LBB4_131
	s_branch .LBB4_116
.LBB4_101:
	s_or_b32 s10, s2, 5
	s_cmp_lt_i32 s10, s23
	s_cselect_b64 s[0:1], -1, 0
	s_cmp_ge_i32 s10, s23
	v_mov_b32_e32 v3, 0
	s_cbranch_scc0 .LBB4_104
; %bb.102:
	s_andn2_b64 vcc, exec, s[0:1]
	v_mov_b32_e32 v6, 0
	s_cbranch_vccz .LBB4_105
.LBB4_103:
	v_add_u32_e32 v2, v3, v0
	v_cmp_lt_i32_e32 vcc, v2, v6
	s_and_saveexec_b64 s[0:1], vcc
	s_cbranch_execnz .LBB4_106
	s_branch .LBB4_115
.LBB4_104:
	s_ashr_i32 s3, s2, 31
	s_lshl_b64 s[12:13], s[2:3], 2
	s_add_u32 s12, s4, s12
	s_addc_u32 s13, s5, s13
	v_mov_b32_e32 v2, 0
	global_load_dword v2, v2, s[12:13] offset:20
	s_waitcnt vmcnt(0)
	v_subrev_u32_e32 v3, s22, v2
	s_andn2_b64 vcc, exec, s[0:1]
	v_mov_b32_e32 v6, 0
	s_cbranch_vccnz .LBB4_103
.LBB4_105:
	s_ashr_i32 s3, s2, 31
	s_lshl_b64 s[0:1], s[2:3], 2
	s_add_u32 s0, s6, s0
	s_addc_u32 s1, s7, s1
	v_mov_b32_e32 v2, 0
	global_load_dword v2, v2, s[0:1] offset:20
	s_waitcnt vmcnt(0)
	v_subrev_u32_e32 v6, s22, v2
	v_add_u32_e32 v2, v3, v0
	v_cmp_lt_i32_e32 vcc, v2, v6
	s_and_saveexec_b64 s[0:1], vcc
	s_cbranch_execz .LBB4_115
.LBB4_106:
	v_add_u32_e32 v4, 0x100, v2
	v_max_i32_e32 v4, v6, v4
	v_xad_u32 v4, v0, -1, v4
	s_add_i32 s3, s10, s22
	v_sub_u32_e32 v3, v4, v3
	s_movk_i32 s10, 0x1b00
	s_movk_i32 s12, 0x1aff
	v_cmp_gt_u32_e64 s[10:11], s10, v3
	v_cmp_lt_u32_e32 vcc, s12, v3
	s_and_saveexec_b64 s[12:13], vcc
	s_cbranch_execz .LBB4_112
; %bb.107:
	v_and_b32_e32 v4, 0xffffff00, v3
	v_add_u32_e32 v4, v2, v4
	v_cmp_ge_i32_e32 vcc, v4, v2
	s_mov_b64 s[16:17], -1
	s_and_saveexec_b64 s[14:15], vcc
	s_cbranch_execz .LBB4_111
; %bb.108:
	v_lshrrev_b32_e32 v3, 8, v3
	v_add_u32_e32 v7, 1, v3
	v_and_b32_e32 v8, 0x1fffffe, v7
	v_add_u32_e32 v3, 0x100, v2
	s_mov_b64 s[16:17], 0
	v_mov_b32_e32 v10, s3
	v_mov_b32_e32 v9, v8
	v_mov_b64_e32 v[4:5], v[2:3]
.LBB4_109:                              ; =>This Inner Loop Header: Depth=1
	v_add_u32_e32 v9, -2, v9
	v_ashrrev_i32_e32 v13, 31, v5
	v_mov_b32_e32 v12, v5
	v_ashrrev_i32_e32 v15, 31, v4
	v_mov_b32_e32 v14, v4
	v_cmp_eq_u32_e32 vcc, 0, v9
	v_add_u32_e32 v5, 0x200, v5
	v_add_u32_e32 v4, 0x200, v4
	v_lshl_add_u64 v[14:15], v[14:15], 2, s[8:9]
	v_lshl_add_u64 v[12:13], v[12:13], 2, s[8:9]
	s_or_b64 s[16:17], vcc, s[16:17]
	global_store_dword v[14:15], v10, off
	global_store_dword v[12:13], v10, off
	s_andn2_b64 exec, exec, s[16:17]
	s_cbranch_execnz .LBB4_109
; %bb.110:
	s_or_b64 exec, exec, s[16:17]
	v_cmp_ne_u32_e32 vcc, v7, v8
	v_lshl_add_u32 v2, v8, 8, v2
	s_orn2_b64 s[16:17], vcc, exec
.LBB4_111:
	s_or_b64 exec, exec, s[14:15]
	s_andn2_b64 s[10:11], s[10:11], exec
	s_and_b64 s[14:15], s[16:17], exec
	s_or_b64 s[10:11], s[10:11], s[14:15]
.LBB4_112:
	s_or_b64 exec, exec, s[12:13]
	s_and_b64 exec, exec, s[10:11]
	s_cbranch_execz .LBB4_115
; %bb.113:
	s_mov_b64 s[10:11], 0
	v_mov_b32_e32 v4, s3
.LBB4_114:                              ; =>This Inner Loop Header: Depth=1
	v_ashrrev_i32_e32 v3, 31, v2
	v_lshl_add_u64 v[8:9], v[2:3], 2, s[8:9]
	v_add_u32_e32 v2, 0x100, v2
	v_cmp_ge_i32_e32 vcc, v2, v6
	s_or_b64 s[10:11], vcc, s[10:11]
	global_store_dword v[8:9], v4, off
	s_andn2_b64 exec, exec, s[10:11]
	s_cbranch_execnz .LBB4_114
.LBB4_115:
	s_or_b64 exec, exec, s[0:1]
	ds_read_b32 v1, v1 offset:24
	s_waitcnt lgkmcnt(0)
	v_cmp_ne_u32_e32 vcc, 0, v1
	s_cbranch_vccnz .LBB4_131
.LBB4_116:
	s_or_b32 s10, s2, 6
	s_cmp_lt_i32 s10, s23
	s_cselect_b64 s[0:1], -1, 0
	s_cmp_ge_i32 s10, s23
	v_mov_b32_e32 v1, 0
	v_mov_b32_e32 v3, 0
	s_cbranch_scc0 .LBB4_119
; %bb.117:
	s_andn2_b64 vcc, exec, s[0:1]
	s_cbranch_vccz .LBB4_120
.LBB4_118:
	v_add_u32_e32 v2, v3, v0
	v_cmp_lt_i32_e32 vcc, v2, v1
	s_and_saveexec_b64 s[0:1], vcc
	s_cbranch_execnz .LBB4_121
	s_branch .LBB4_130
.LBB4_119:
	s_ashr_i32 s3, s2, 31
	s_lshl_b64 s[12:13], s[2:3], 2
	s_add_u32 s12, s4, s12
	s_addc_u32 s13, s5, s13
	v_mov_b32_e32 v2, 0
	global_load_dword v2, v2, s[12:13] offset:24
	s_waitcnt vmcnt(0)
	v_subrev_u32_e32 v3, s22, v2
	s_andn2_b64 vcc, exec, s[0:1]
	s_cbranch_vccnz .LBB4_118
.LBB4_120:
	s_ashr_i32 s3, s2, 31
	s_lshl_b64 s[0:1], s[2:3], 2
	s_add_u32 s0, s6, s0
	s_addc_u32 s1, s7, s1
	v_mov_b32_e32 v1, 0
	global_load_dword v1, v1, s[0:1] offset:24
	s_waitcnt vmcnt(0)
	v_subrev_u32_e32 v1, s22, v1
	v_add_u32_e32 v2, v3, v0
	v_cmp_lt_i32_e32 vcc, v2, v1
	s_and_saveexec_b64 s[0:1], vcc
	s_cbranch_execz .LBB4_130
.LBB4_121:
	v_add_u32_e32 v4, 0x100, v2
	v_max_i32_e32 v4, v1, v4
	v_xad_u32 v4, v0, -1, v4
	s_add_i32 s3, s10, s22
	v_sub_u32_e32 v3, v4, v3
	s_movk_i32 s10, 0x1b00
	s_movk_i32 s12, 0x1aff
	v_cmp_gt_u32_e64 s[10:11], s10, v3
	v_cmp_lt_u32_e32 vcc, s12, v3
	s_and_saveexec_b64 s[12:13], vcc
	s_cbranch_execz .LBB4_127
; %bb.122:
	v_and_b32_e32 v4, 0xffffff00, v3
	v_add_u32_e32 v4, v2, v4
	v_cmp_ge_i32_e32 vcc, v4, v2
	s_mov_b64 s[16:17], -1
	s_and_saveexec_b64 s[14:15], vcc
	s_cbranch_execz .LBB4_126
; %bb.123:
	v_lshrrev_b32_e32 v3, 8, v3
	v_add_u32_e32 v6, 1, v3
	v_and_b32_e32 v7, 0x1fffffe, v6
	v_add_u32_e32 v3, 0x100, v2
	s_mov_b64 s[16:17], 0
	v_mov_b32_e32 v9, s3
	v_mov_b32_e32 v8, v7
	v_mov_b64_e32 v[4:5], v[2:3]
.LBB4_124:                              ; =>This Inner Loop Header: Depth=1
	v_add_u32_e32 v8, -2, v8
	v_ashrrev_i32_e32 v11, 31, v5
	v_mov_b32_e32 v10, v5
	v_ashrrev_i32_e32 v13, 31, v4
	v_mov_b32_e32 v12, v4
	v_cmp_eq_u32_e32 vcc, 0, v8
	v_add_u32_e32 v5, 0x200, v5
	v_add_u32_e32 v4, 0x200, v4
	v_lshl_add_u64 v[12:13], v[12:13], 2, s[8:9]
	v_lshl_add_u64 v[10:11], v[10:11], 2, s[8:9]
	s_or_b64 s[16:17], vcc, s[16:17]
	global_store_dword v[12:13], v9, off
	global_store_dword v[10:11], v9, off
	s_andn2_b64 exec, exec, s[16:17]
	s_cbranch_execnz .LBB4_124
; %bb.125:
	s_or_b64 exec, exec, s[16:17]
	v_cmp_ne_u32_e32 vcc, v6, v7
	v_lshl_add_u32 v2, v7, 8, v2
	s_orn2_b64 s[16:17], vcc, exec
.LBB4_126:
	s_or_b64 exec, exec, s[14:15]
	s_andn2_b64 s[10:11], s[10:11], exec
	s_and_b64 s[14:15], s[16:17], exec
	s_or_b64 s[10:11], s[10:11], s[14:15]
.LBB4_127:
	s_or_b64 exec, exec, s[12:13]
	s_and_b64 exec, exec, s[10:11]
	s_cbranch_execz .LBB4_130
; %bb.128:
	s_mov_b64 s[10:11], 0
	v_mov_b32_e32 v4, s3
.LBB4_129:                              ; =>This Inner Loop Header: Depth=1
	v_ashrrev_i32_e32 v3, 31, v2
	v_lshl_add_u64 v[6:7], v[2:3], 2, s[8:9]
	v_add_u32_e32 v2, 0x100, v2
	v_cmp_ge_i32_e32 vcc, v2, v1
	s_or_b64 s[10:11], vcc, s[10:11]
	global_store_dword v[6:7], v4, off
	s_andn2_b64 exec, exec, s[10:11]
	s_cbranch_execnz .LBB4_129
.LBB4_130:
	s_or_b64 exec, exec, s[0:1]
.LBB4_131:
	v_mov_b32_e32 v1, 0
	ds_read_b32 v2, v1 offset:28
	s_waitcnt lgkmcnt(0)
	v_cmp_ne_u32_e32 vcc, 0, v2
	s_cbranch_vccnz .LBB4_146
; %bb.132:
	s_or_b32 s10, s2, 7
	s_cmp_lt_i32 s10, s23
	s_cselect_b64 s[0:1], -1, 0
	s_cmp_ge_i32 s10, s23
	s_cbranch_scc0 .LBB4_135
; %bb.133:
	s_andn2_b64 vcc, exec, s[0:1]
	v_mov_b32_e32 v4, 0
	s_cbranch_vccz .LBB4_136
.LBB4_134:
	v_add_u32_e32 v2, v1, v0
	v_cmp_lt_i32_e32 vcc, v2, v4
	s_and_saveexec_b64 s[0:1], vcc
	s_cbranch_execnz .LBB4_137
	s_branch .LBB4_146
.LBB4_135:
	s_ashr_i32 s3, s2, 31
	s_lshl_b64 s[12:13], s[2:3], 2
	s_add_u32 s4, s4, s12
	s_addc_u32 s5, s5, s13
	v_mov_b32_e32 v1, 0
	global_load_dword v1, v1, s[4:5] offset:28
	s_waitcnt vmcnt(0)
	v_subrev_u32_e32 v1, s22, v1
	s_andn2_b64 vcc, exec, s[0:1]
	v_mov_b32_e32 v4, 0
	s_cbranch_vccnz .LBB4_134
.LBB4_136:
	s_ashr_i32 s3, s2, 31
	s_lshl_b64 s[0:1], s[2:3], 2
	s_add_u32 s0, s6, s0
	s_addc_u32 s1, s7, s1
	v_mov_b32_e32 v2, 0
	global_load_dword v2, v2, s[0:1] offset:28
	s_waitcnt vmcnt(0)
	v_subrev_u32_e32 v4, s22, v2
	v_add_u32_e32 v2, v1, v0
	v_cmp_lt_i32_e32 vcc, v2, v4
	s_and_saveexec_b64 s[0:1], vcc
	s_cbranch_execz .LBB4_146
.LBB4_137:
	v_add_u32_e32 v3, 0x100, v2
	v_max_i32_e32 v3, v4, v3
	v_xad_u32 v0, v0, -1, v3
	v_sub_u32_e32 v0, v0, v1
	s_movk_i32 s0, 0x1b00
	s_movk_i32 s2, 0x1aff
	s_add_i32 s10, s10, s22
	v_cmp_gt_u32_e64 s[0:1], s0, v0
	v_cmp_lt_u32_e32 vcc, s2, v0
	s_and_saveexec_b64 s[2:3], vcc
	s_cbranch_execz .LBB4_143
; %bb.138:
	v_and_b32_e32 v1, 0xffffff00, v0
	v_add_u32_e32 v1, v2, v1
	v_cmp_ge_i32_e32 vcc, v1, v2
	s_mov_b64 s[6:7], -1
	s_and_saveexec_b64 s[4:5], vcc
	s_cbranch_execz .LBB4_142
; %bb.139:
	v_lshrrev_b32_e32 v0, 8, v0
	v_add_u32_e32 v5, 1, v0
	v_and_b32_e32 v6, 0x1fffffe, v5
	v_add_u32_e32 v3, 0x100, v2
	s_mov_b64 s[6:7], 0
	v_mov_b32_e32 v8, s10
	v_mov_b32_e32 v7, v6
	v_mov_b64_e32 v[0:1], v[2:3]
.LBB4_140:                              ; =>This Inner Loop Header: Depth=1
	v_add_u32_e32 v7, -2, v7
	v_ashrrev_i32_e32 v11, 31, v1
	v_mov_b32_e32 v10, v1
	v_ashrrev_i32_e32 v13, 31, v0
	v_mov_b32_e32 v12, v0
	v_cmp_eq_u32_e32 vcc, 0, v7
	v_add_u32_e32 v1, 0x200, v1
	v_add_u32_e32 v0, 0x200, v0
	v_lshl_add_u64 v[12:13], v[12:13], 2, s[8:9]
	v_lshl_add_u64 v[10:11], v[10:11], 2, s[8:9]
	s_or_b64 s[6:7], vcc, s[6:7]
	global_store_dword v[12:13], v8, off
	global_store_dword v[10:11], v8, off
	s_andn2_b64 exec, exec, s[6:7]
	s_cbranch_execnz .LBB4_140
; %bb.141:
	s_or_b64 exec, exec, s[6:7]
	v_cmp_ne_u32_e32 vcc, v5, v6
	v_lshl_add_u32 v2, v6, 8, v2
	s_orn2_b64 s[6:7], vcc, exec
.LBB4_142:
	s_or_b64 exec, exec, s[4:5]
	s_andn2_b64 s[0:1], s[0:1], exec
	s_and_b64 s[4:5], s[6:7], exec
	s_or_b64 s[0:1], s[0:1], s[4:5]
.LBB4_143:
	s_or_b64 exec, exec, s[2:3]
	s_and_b64 exec, exec, s[0:1]
	s_cbranch_execz .LBB4_146
; %bb.144:
	s_mov_b64 s[0:1], 0
	v_mov_b32_e32 v0, s10
.LBB4_145:                              ; =>This Inner Loop Header: Depth=1
	v_ashrrev_i32_e32 v3, 31, v2
	v_lshl_add_u64 v[6:7], v[2:3], 2, s[8:9]
	v_add_u32_e32 v2, 0x100, v2
	v_cmp_ge_i32_e32 vcc, v2, v4
	s_or_b64 s[0:1], vcc, s[0:1]
	global_store_dword v[6:7], v0, off
	s_andn2_b64 exec, exec, s[0:1]
	s_cbranch_execnz .LBB4_145
.LBB4_146:
	s_endpgm
	.section	.rodata,"a",@progbits
	.p2align	6, 0x0
	.amdhsa_kernel _ZN9rocsparseL14csr2coo_kernelILj256ELj32EiiEEvT2_PKT1_S4_PS1_21rocsparse_index_base_
		.amdhsa_group_segment_fixed_size 36
		.amdhsa_private_segment_fixed_size 0
		.amdhsa_kernarg_size 36
		.amdhsa_user_sgpr_count 2
		.amdhsa_user_sgpr_dispatch_ptr 0
		.amdhsa_user_sgpr_queue_ptr 0
		.amdhsa_user_sgpr_kernarg_segment_ptr 1
		.amdhsa_user_sgpr_dispatch_id 0
		.amdhsa_user_sgpr_kernarg_preload_length 0
		.amdhsa_user_sgpr_kernarg_preload_offset 0
		.amdhsa_user_sgpr_private_segment_size 0
		.amdhsa_uses_dynamic_stack 0
		.amdhsa_enable_private_segment 0
		.amdhsa_system_sgpr_workgroup_id_x 1
		.amdhsa_system_sgpr_workgroup_id_y 0
		.amdhsa_system_sgpr_workgroup_id_z 0
		.amdhsa_system_sgpr_workgroup_info 0
		.amdhsa_system_vgpr_workitem_id 0
		.amdhsa_next_free_vgpr 16
		.amdhsa_next_free_sgpr 24
		.amdhsa_accum_offset 16
		.amdhsa_reserve_vcc 1
		.amdhsa_float_round_mode_32 0
		.amdhsa_float_round_mode_16_64 0
		.amdhsa_float_denorm_mode_32 3
		.amdhsa_float_denorm_mode_16_64 3
		.amdhsa_dx10_clamp 1
		.amdhsa_ieee_mode 1
		.amdhsa_fp16_overflow 0
		.amdhsa_tg_split 0
		.amdhsa_exception_fp_ieee_invalid_op 0
		.amdhsa_exception_fp_denorm_src 0
		.amdhsa_exception_fp_ieee_div_zero 0
		.amdhsa_exception_fp_ieee_overflow 0
		.amdhsa_exception_fp_ieee_underflow 0
		.amdhsa_exception_fp_ieee_inexact 0
		.amdhsa_exception_int_div_zero 0
	.end_amdhsa_kernel
	.section	.text._ZN9rocsparseL14csr2coo_kernelILj256ELj32EiiEEvT2_PKT1_S4_PS1_21rocsparse_index_base_,"axG",@progbits,_ZN9rocsparseL14csr2coo_kernelILj256ELj32EiiEEvT2_PKT1_S4_PS1_21rocsparse_index_base_,comdat
.Lfunc_end4:
	.size	_ZN9rocsparseL14csr2coo_kernelILj256ELj32EiiEEvT2_PKT1_S4_PS1_21rocsparse_index_base_, .Lfunc_end4-_ZN9rocsparseL14csr2coo_kernelILj256ELj32EiiEEvT2_PKT1_S4_PS1_21rocsparse_index_base_
                                        ; -- End function
	.set _ZN9rocsparseL14csr2coo_kernelILj256ELj32EiiEEvT2_PKT1_S4_PS1_21rocsparse_index_base_.num_vgpr, 16
	.set _ZN9rocsparseL14csr2coo_kernelILj256ELj32EiiEEvT2_PKT1_S4_PS1_21rocsparse_index_base_.num_agpr, 0
	.set _ZN9rocsparseL14csr2coo_kernelILj256ELj32EiiEEvT2_PKT1_S4_PS1_21rocsparse_index_base_.numbered_sgpr, 24
	.set _ZN9rocsparseL14csr2coo_kernelILj256ELj32EiiEEvT2_PKT1_S4_PS1_21rocsparse_index_base_.num_named_barrier, 0
	.set _ZN9rocsparseL14csr2coo_kernelILj256ELj32EiiEEvT2_PKT1_S4_PS1_21rocsparse_index_base_.private_seg_size, 0
	.set _ZN9rocsparseL14csr2coo_kernelILj256ELj32EiiEEvT2_PKT1_S4_PS1_21rocsparse_index_base_.uses_vcc, 1
	.set _ZN9rocsparseL14csr2coo_kernelILj256ELj32EiiEEvT2_PKT1_S4_PS1_21rocsparse_index_base_.uses_flat_scratch, 0
	.set _ZN9rocsparseL14csr2coo_kernelILj256ELj32EiiEEvT2_PKT1_S4_PS1_21rocsparse_index_base_.has_dyn_sized_stack, 0
	.set _ZN9rocsparseL14csr2coo_kernelILj256ELj32EiiEEvT2_PKT1_S4_PS1_21rocsparse_index_base_.has_recursion, 0
	.set _ZN9rocsparseL14csr2coo_kernelILj256ELj32EiiEEvT2_PKT1_S4_PS1_21rocsparse_index_base_.has_indirect_call, 0
	.section	.AMDGPU.csdata,"",@progbits
; Kernel info:
; codeLenInByte = 4556
; TotalNumSgprs: 30
; NumVgprs: 16
; NumAgprs: 0
; TotalNumVgprs: 16
; ScratchSize: 0
; MemoryBound: 0
; FloatMode: 240
; IeeeMode: 1
; LDSByteSize: 36 bytes/workgroup (compile time only)
; SGPRBlocks: 3
; VGPRBlocks: 1
; NumSGPRsForWavesPerEU: 30
; NumVGPRsForWavesPerEU: 16
; AccumOffset: 16
; Occupancy: 8
; WaveLimiterHint : 0
; COMPUTE_PGM_RSRC2:SCRATCH_EN: 0
; COMPUTE_PGM_RSRC2:USER_SGPR: 2
; COMPUTE_PGM_RSRC2:TRAP_HANDLER: 0
; COMPUTE_PGM_RSRC2:TGID_X_EN: 1
; COMPUTE_PGM_RSRC2:TGID_Y_EN: 0
; COMPUTE_PGM_RSRC2:TGID_Z_EN: 0
; COMPUTE_PGM_RSRC2:TIDIG_COMP_CNT: 0
; COMPUTE_PGM_RSRC3_GFX90A:ACCUM_OFFSET: 3
; COMPUTE_PGM_RSRC3_GFX90A:TG_SPLIT: 0
	.section	.text._ZN9rocsparseL14csr2coo_kernelILj256ELj64EiiEEvT2_PKT1_S4_PS1_21rocsparse_index_base_,"axG",@progbits,_ZN9rocsparseL14csr2coo_kernelILj256ELj64EiiEEvT2_PKT1_S4_PS1_21rocsparse_index_base_,comdat
	.globl	_ZN9rocsparseL14csr2coo_kernelILj256ELj64EiiEEvT2_PKT1_S4_PS1_21rocsparse_index_base_ ; -- Begin function _ZN9rocsparseL14csr2coo_kernelILj256ELj64EiiEEvT2_PKT1_S4_PS1_21rocsparse_index_base_
	.p2align	8
	.type	_ZN9rocsparseL14csr2coo_kernelILj256ELj64EiiEEvT2_PKT1_S4_PS1_21rocsparse_index_base_,@function
_ZN9rocsparseL14csr2coo_kernelILj256ELj64EiiEEvT2_PKT1_S4_PS1_21rocsparse_index_base_: ; @_ZN9rocsparseL14csr2coo_kernelILj256ELj64EiiEEvT2_PKT1_S4_PS1_21rocsparse_index_base_
; %bb.0:
	s_load_dword s23, s[0:1], 0x0
	s_load_dwordx4 s[4:7], s[0:1], 0x8
	s_load_dwordx2 s[8:9], s[0:1], 0x18
	s_load_dword s22, s[0:1], 0x20
	v_lshrrev_b32_e32 v1, 6, v0
	s_lshl_b32 s2, s2, 2
	v_or_b32_e32 v4, s2, v1
	v_mov_b32_e32 v2, 1
	v_mov_b32_e32 v6, 0
	s_waitcnt lgkmcnt(0)
	v_cmp_gt_i32_e32 vcc, s23, v4
	v_ashrrev_i32_e32 v5, 31, v4
	v_mov_b32_e32 v8, 0
	ds_write_b32 v6, v2 offset:16
	s_waitcnt lgkmcnt(0)
	s_barrier
	s_and_saveexec_b64 s[0:1], vcc
	s_cbranch_execz .LBB5_2
; %bb.1:
	v_lshl_add_u64 v[2:3], v[4:5], 2, s[4:5]
	global_load_dword v2, v[2:3], off
	s_waitcnt vmcnt(0)
	v_subrev_u32_e32 v8, s22, v2
.LBB5_2:
	s_or_b64 exec, exec, s[0:1]
	s_and_saveexec_b64 s[0:1], vcc
	s_cbranch_execz .LBB5_4
; %bb.3:
	v_lshl_add_u64 v[2:3], v[4:5], 2, s[6:7]
	global_load_dword v2, v[2:3], off
	s_waitcnt vmcnt(0)
	v_subrev_u32_e32 v6, s22, v2
.LBB5_4:
	s_or_b64 exec, exec, s[0:1]
	v_sub_u32_e32 v2, v6, v8
	s_movk_i32 s0, 0x201
	v_cmp_gt_u32_e32 vcc, s0, v2
	s_movk_i32 s0, 0x200
	v_cmp_lt_u32_e64 s[0:1], s0, v2
	s_and_saveexec_b64 s[10:11], s[0:1]
	s_xor_b64 s[0:1], exec, s[10:11]
; %bb.5:
	v_mov_b32_e32 v2, 0
	ds_write_b32 v2, v2 offset:16
                                        ; implicit-def: $vgpr8
                                        ; implicit-def: $vgpr6
                                        ; implicit-def: $vgpr4
; %bb.6:
	s_andn2_saveexec_b64 s[10:11], s[0:1]
	s_cbranch_execz .LBB5_18
; %bb.7:
	v_and_b32_e32 v5, 63, v0
	v_add_u32_e32 v2, v8, v5
	v_cmp_lt_i32_e64 s[0:1], v2, v6
	s_and_saveexec_b64 s[12:13], s[0:1]
	s_cbranch_execz .LBB5_17
; %bb.8:
	v_add_u32_e32 v3, 64, v2
	v_add_u32_e32 v7, s22, v4
	v_max_i32_e32 v4, v6, v3
	v_xad_u32 v4, v8, -1, v4
	v_sub_u32_e32 v4, v4, v5
	s_movk_i32 s0, 0x6c0
	v_cmp_gt_u32_e64 s[14:15], s0, v4
	s_movk_i32 s0, 0x6bf
	v_cmp_lt_u32_e64 s[0:1], s0, v4
	s_and_saveexec_b64 s[16:17], s[0:1]
	s_cbranch_execz .LBB5_14
; %bb.9:
	v_and_b32_e32 v5, 0xffffffc0, v4
	v_add_u32_e32 v5, v2, v5
	v_cmp_ge_i32_e64 s[0:1], v5, v2
	s_mov_b64 s[20:21], -1
	s_and_saveexec_b64 s[18:19], s[0:1]
	s_cbranch_execz .LBB5_13
; %bb.10:
	v_lshrrev_b32_e32 v4, 6, v4
	v_add_u32_e32 v8, 1, v4
	v_and_b32_e32 v9, 0x7fffffe, v8
	s_mov_b64 s[20:21], 0
	v_mov_b32_e32 v10, v9
	v_mov_b64_e32 v[4:5], v[2:3]
.LBB5_11:                               ; =>This Inner Loop Header: Depth=1
	v_add_u32_e32 v10, -2, v10
	v_ashrrev_i32_e32 v13, 31, v5
	v_mov_b32_e32 v12, v5
	v_ashrrev_i32_e32 v15, 31, v4
	v_mov_b32_e32 v14, v4
	v_cmp_eq_u32_e64 s[0:1], 0, v10
	v_add_u32_e32 v5, 0x80, v5
	v_add_u32_e32 v4, 0x80, v4
	v_lshl_add_u64 v[14:15], v[14:15], 2, s[8:9]
	v_lshl_add_u64 v[12:13], v[12:13], 2, s[8:9]
	s_or_b64 s[20:21], s[0:1], s[20:21]
	global_store_dword v[14:15], v7, off
	global_store_dword v[12:13], v7, off
	s_andn2_b64 exec, exec, s[20:21]
	s_cbranch_execnz .LBB5_11
; %bb.12:
	s_or_b64 exec, exec, s[20:21]
	v_cmp_ne_u32_e64 s[0:1], v8, v9
	v_lshl_add_u32 v2, v9, 6, v2
	s_orn2_b64 s[20:21], s[0:1], exec
.LBB5_13:
	s_or_b64 exec, exec, s[18:19]
	s_andn2_b64 s[0:1], s[14:15], exec
	s_and_b64 s[14:15], s[20:21], exec
	s_or_b64 s[14:15], s[0:1], s[14:15]
.LBB5_14:
	s_or_b64 exec, exec, s[16:17]
	s_and_b64 exec, exec, s[14:15]
	s_cbranch_execz .LBB5_17
; %bb.15:
	s_mov_b64 s[14:15], 0
.LBB5_16:                               ; =>This Inner Loop Header: Depth=1
	v_ashrrev_i32_e32 v3, 31, v2
	v_lshl_add_u64 v[4:5], v[2:3], 2, s[8:9]
	v_add_u32_e32 v2, 64, v2
	v_cmp_ge_i32_e64 s[0:1], v2, v6
	s_or_b64 s[14:15], s[0:1], s[14:15]
	global_store_dword v[4:5], v7, off
	s_andn2_b64 exec, exec, s[14:15]
	s_cbranch_execnz .LBB5_16
.LBB5_17:
	s_or_b64 exec, exec, s[12:13]
.LBB5_18:
	s_or_b64 exec, exec, s[10:11]
	v_cndmask_b32_e64 v2, 0, 1, vcc
	v_lshlrev_b32_e32 v1, 2, v1
	ds_write_b32 v1, v2
	v_mov_b32_e32 v1, 0
	s_waitcnt lgkmcnt(0)
	s_barrier
	ds_read_b32 v2, v1 offset:16
	s_waitcnt lgkmcnt(0)
	v_cmp_ne_u32_e32 vcc, 0, v2
	s_cbranch_vccnz .LBB5_82
; %bb.19:
	ds_read_b32 v1, v1
	s_waitcnt lgkmcnt(0)
	v_cmp_ne_u32_e32 vcc, 0, v1
	s_cbranch_vccnz .LBB5_35
; %bb.20:
	s_cmp_lt_i32 s2, s23
	s_cselect_b64 s[0:1], -1, 0
	s_cmp_ge_i32 s2, s23
	v_mov_b32_e32 v1, 0
	v_mov_b32_e32 v3, 0
	s_cbranch_scc0 .LBB5_23
; %bb.21:
	s_andn2_b64 vcc, exec, s[0:1]
	s_cbranch_vccz .LBB5_24
.LBB5_22:
	v_add_u32_e32 v2, v3, v0
	v_cmp_lt_i32_e32 vcc, v2, v1
	s_and_saveexec_b64 s[0:1], vcc
	s_cbranch_execnz .LBB5_25
	s_branch .LBB5_34
.LBB5_23:
	s_ashr_i32 s3, s2, 31
	s_lshl_b64 s[10:11], s[2:3], 2
	s_add_u32 s10, s4, s10
	s_addc_u32 s11, s5, s11
	v_mov_b32_e32 v2, 0
	global_load_dword v2, v2, s[10:11]
	s_waitcnt vmcnt(0)
	v_subrev_u32_e32 v3, s22, v2
	s_andn2_b64 vcc, exec, s[0:1]
	s_cbranch_vccnz .LBB5_22
.LBB5_24:
	s_ashr_i32 s3, s2, 31
	s_lshl_b64 s[0:1], s[2:3], 2
	s_add_u32 s0, s6, s0
	s_addc_u32 s1, s7, s1
	v_mov_b32_e32 v1, 0
	global_load_dword v1, v1, s[0:1]
	s_waitcnt vmcnt(0)
	v_subrev_u32_e32 v1, s22, v1
	v_add_u32_e32 v2, v3, v0
	v_cmp_lt_i32_e32 vcc, v2, v1
	s_and_saveexec_b64 s[0:1], vcc
	s_cbranch_execz .LBB5_34
.LBB5_25:
	v_add_u32_e32 v4, 0x100, v2
	v_max_i32_e32 v4, v1, v4
	v_xad_u32 v4, v0, -1, v4
	v_sub_u32_e32 v3, v4, v3
	s_movk_i32 s10, 0x1b00
	s_movk_i32 s12, 0x1aff
	s_add_i32 s3, s2, s22
	v_cmp_gt_u32_e64 s[10:11], s10, v3
	v_cmp_lt_u32_e32 vcc, s12, v3
	s_and_saveexec_b64 s[12:13], vcc
	s_cbranch_execz .LBB5_31
; %bb.26:
	v_and_b32_e32 v4, 0xffffff00, v3
	v_add_u32_e32 v4, v2, v4
	v_cmp_ge_i32_e32 vcc, v4, v2
	s_mov_b64 s[16:17], -1
	s_and_saveexec_b64 s[14:15], vcc
	s_cbranch_execz .LBB5_30
; %bb.27:
	v_lshrrev_b32_e32 v3, 8, v3
	v_add_u32_e32 v6, 1, v3
	v_and_b32_e32 v7, 0x1fffffe, v6
	v_add_u32_e32 v3, 0x100, v2
	s_mov_b64 s[16:17], 0
	v_mov_b32_e32 v9, s3
	v_mov_b32_e32 v8, v7
	v_mov_b64_e32 v[4:5], v[2:3]
.LBB5_28:                               ; =>This Inner Loop Header: Depth=1
	v_add_u32_e32 v8, -2, v8
	v_ashrrev_i32_e32 v11, 31, v5
	v_mov_b32_e32 v10, v5
	v_ashrrev_i32_e32 v13, 31, v4
	v_mov_b32_e32 v12, v4
	v_cmp_eq_u32_e32 vcc, 0, v8
	v_add_u32_e32 v5, 0x200, v5
	v_add_u32_e32 v4, 0x200, v4
	v_lshl_add_u64 v[12:13], v[12:13], 2, s[8:9]
	v_lshl_add_u64 v[10:11], v[10:11], 2, s[8:9]
	s_or_b64 s[16:17], vcc, s[16:17]
	global_store_dword v[12:13], v9, off
	global_store_dword v[10:11], v9, off
	s_andn2_b64 exec, exec, s[16:17]
	s_cbranch_execnz .LBB5_28
; %bb.29:
	s_or_b64 exec, exec, s[16:17]
	v_cmp_ne_u32_e32 vcc, v6, v7
	v_lshl_add_u32 v2, v7, 8, v2
	s_orn2_b64 s[16:17], vcc, exec
.LBB5_30:
	s_or_b64 exec, exec, s[14:15]
	s_andn2_b64 s[10:11], s[10:11], exec
	s_and_b64 s[14:15], s[16:17], exec
	s_or_b64 s[10:11], s[10:11], s[14:15]
.LBB5_31:
	s_or_b64 exec, exec, s[12:13]
	s_and_b64 exec, exec, s[10:11]
	s_cbranch_execz .LBB5_34
; %bb.32:
	s_mov_b64 s[10:11], 0
	v_mov_b32_e32 v4, s3
.LBB5_33:                               ; =>This Inner Loop Header: Depth=1
	v_ashrrev_i32_e32 v3, 31, v2
	v_lshl_add_u64 v[6:7], v[2:3], 2, s[8:9]
	v_add_u32_e32 v2, 0x100, v2
	v_cmp_ge_i32_e32 vcc, v2, v1
	s_or_b64 s[10:11], vcc, s[10:11]
	global_store_dword v[6:7], v4, off
	s_andn2_b64 exec, exec, s[10:11]
	s_cbranch_execnz .LBB5_33
.LBB5_34:
	s_or_b64 exec, exec, s[0:1]
.LBB5_35:
	v_mov_b32_e32 v1, 0
	ds_read_b32 v2, v1 offset:4
	s_waitcnt lgkmcnt(0)
	v_cmp_ne_u32_e32 vcc, 0, v2
	s_cbranch_vccz .LBB5_37
; %bb.36:
	ds_read_b32 v1, v1 offset:8
	s_waitcnt lgkmcnt(0)
	v_cmp_ne_u32_e32 vcc, 0, v1
	s_cbranch_vccnz .LBB5_67
	s_branch .LBB5_52
.LBB5_37:
	s_or_b32 s10, s2, 1
	s_cmp_lt_i32 s10, s23
	s_cselect_b64 s[0:1], -1, 0
	s_cmp_ge_i32 s10, s23
	v_mov_b32_e32 v3, 0
	s_cbranch_scc0 .LBB5_40
; %bb.38:
	s_andn2_b64 vcc, exec, s[0:1]
	v_mov_b32_e32 v6, 0
	s_cbranch_vccz .LBB5_41
.LBB5_39:
	v_add_u32_e32 v2, v3, v0
	v_cmp_lt_i32_e32 vcc, v2, v6
	s_and_saveexec_b64 s[0:1], vcc
	s_cbranch_execnz .LBB5_42
	s_branch .LBB5_51
.LBB5_40:
	s_ashr_i32 s3, s2, 31
	s_lshl_b64 s[12:13], s[2:3], 2
	s_add_u32 s12, s4, s12
	s_addc_u32 s13, s5, s13
	v_mov_b32_e32 v2, 0
	global_load_dword v2, v2, s[12:13] offset:4
	s_waitcnt vmcnt(0)
	v_subrev_u32_e32 v3, s22, v2
	s_andn2_b64 vcc, exec, s[0:1]
	v_mov_b32_e32 v6, 0
	s_cbranch_vccnz .LBB5_39
.LBB5_41:
	s_ashr_i32 s3, s2, 31
	s_lshl_b64 s[0:1], s[2:3], 2
	s_add_u32 s0, s6, s0
	s_addc_u32 s1, s7, s1
	v_mov_b32_e32 v2, 0
	global_load_dword v2, v2, s[0:1] offset:4
	s_waitcnt vmcnt(0)
	v_subrev_u32_e32 v6, s22, v2
	v_add_u32_e32 v2, v3, v0
	v_cmp_lt_i32_e32 vcc, v2, v6
	s_and_saveexec_b64 s[0:1], vcc
	s_cbranch_execz .LBB5_51
.LBB5_42:
	v_add_u32_e32 v4, 0x100, v2
	v_max_i32_e32 v4, v6, v4
	v_xad_u32 v4, v0, -1, v4
	s_add_i32 s3, s10, s22
	v_sub_u32_e32 v3, v4, v3
	s_movk_i32 s10, 0x1b00
	s_movk_i32 s12, 0x1aff
	v_cmp_gt_u32_e64 s[10:11], s10, v3
	v_cmp_lt_u32_e32 vcc, s12, v3
	s_and_saveexec_b64 s[12:13], vcc
	s_cbranch_execz .LBB5_48
; %bb.43:
	v_and_b32_e32 v4, 0xffffff00, v3
	v_add_u32_e32 v4, v2, v4
	v_cmp_ge_i32_e32 vcc, v4, v2
	s_mov_b64 s[16:17], -1
	s_and_saveexec_b64 s[14:15], vcc
	s_cbranch_execz .LBB5_47
; %bb.44:
	v_lshrrev_b32_e32 v3, 8, v3
	v_add_u32_e32 v7, 1, v3
	v_and_b32_e32 v8, 0x1fffffe, v7
	v_add_u32_e32 v3, 0x100, v2
	s_mov_b64 s[16:17], 0
	v_mov_b32_e32 v10, s3
	v_mov_b32_e32 v9, v8
	v_mov_b64_e32 v[4:5], v[2:3]
.LBB5_45:                               ; =>This Inner Loop Header: Depth=1
	v_add_u32_e32 v9, -2, v9
	v_ashrrev_i32_e32 v13, 31, v5
	v_mov_b32_e32 v12, v5
	v_ashrrev_i32_e32 v15, 31, v4
	v_mov_b32_e32 v14, v4
	v_cmp_eq_u32_e32 vcc, 0, v9
	v_add_u32_e32 v5, 0x200, v5
	v_add_u32_e32 v4, 0x200, v4
	v_lshl_add_u64 v[14:15], v[14:15], 2, s[8:9]
	v_lshl_add_u64 v[12:13], v[12:13], 2, s[8:9]
	s_or_b64 s[16:17], vcc, s[16:17]
	global_store_dword v[14:15], v10, off
	global_store_dword v[12:13], v10, off
	s_andn2_b64 exec, exec, s[16:17]
	s_cbranch_execnz .LBB5_45
; %bb.46:
	s_or_b64 exec, exec, s[16:17]
	v_cmp_ne_u32_e32 vcc, v7, v8
	v_lshl_add_u32 v2, v8, 8, v2
	s_orn2_b64 s[16:17], vcc, exec
.LBB5_47:
	s_or_b64 exec, exec, s[14:15]
	s_andn2_b64 s[10:11], s[10:11], exec
	s_and_b64 s[14:15], s[16:17], exec
	s_or_b64 s[10:11], s[10:11], s[14:15]
.LBB5_48:
	s_or_b64 exec, exec, s[12:13]
	s_and_b64 exec, exec, s[10:11]
	s_cbranch_execz .LBB5_51
; %bb.49:
	s_mov_b64 s[10:11], 0
	v_mov_b32_e32 v4, s3
.LBB5_50:                               ; =>This Inner Loop Header: Depth=1
	v_ashrrev_i32_e32 v3, 31, v2
	v_lshl_add_u64 v[8:9], v[2:3], 2, s[8:9]
	v_add_u32_e32 v2, 0x100, v2
	v_cmp_ge_i32_e32 vcc, v2, v6
	s_or_b64 s[10:11], vcc, s[10:11]
	global_store_dword v[8:9], v4, off
	s_andn2_b64 exec, exec, s[10:11]
	s_cbranch_execnz .LBB5_50
.LBB5_51:
	s_or_b64 exec, exec, s[0:1]
	ds_read_b32 v1, v1 offset:8
	s_waitcnt lgkmcnt(0)
	v_cmp_ne_u32_e32 vcc, 0, v1
	s_cbranch_vccnz .LBB5_67
.LBB5_52:
	s_or_b32 s10, s2, 2
	s_cmp_lt_i32 s10, s23
	s_cselect_b64 s[0:1], -1, 0
	s_cmp_ge_i32 s10, s23
	v_mov_b32_e32 v1, 0
	v_mov_b32_e32 v3, 0
	s_cbranch_scc0 .LBB5_55
; %bb.53:
	s_andn2_b64 vcc, exec, s[0:1]
	s_cbranch_vccz .LBB5_56
.LBB5_54:
	v_add_u32_e32 v2, v3, v0
	v_cmp_lt_i32_e32 vcc, v2, v1
	s_and_saveexec_b64 s[0:1], vcc
	s_cbranch_execnz .LBB5_57
	s_branch .LBB5_66
.LBB5_55:
	s_ashr_i32 s3, s2, 31
	s_lshl_b64 s[12:13], s[2:3], 2
	s_add_u32 s12, s4, s12
	s_addc_u32 s13, s5, s13
	v_mov_b32_e32 v2, 0
	global_load_dword v2, v2, s[12:13] offset:8
	s_waitcnt vmcnt(0)
	v_subrev_u32_e32 v3, s22, v2
	s_andn2_b64 vcc, exec, s[0:1]
	s_cbranch_vccnz .LBB5_54
.LBB5_56:
	s_ashr_i32 s3, s2, 31
	s_lshl_b64 s[0:1], s[2:3], 2
	s_add_u32 s0, s6, s0
	s_addc_u32 s1, s7, s1
	v_mov_b32_e32 v1, 0
	global_load_dword v1, v1, s[0:1] offset:8
	s_waitcnt vmcnt(0)
	v_subrev_u32_e32 v1, s22, v1
	v_add_u32_e32 v2, v3, v0
	v_cmp_lt_i32_e32 vcc, v2, v1
	s_and_saveexec_b64 s[0:1], vcc
	s_cbranch_execz .LBB5_66
.LBB5_57:
	v_add_u32_e32 v4, 0x100, v2
	v_max_i32_e32 v4, v1, v4
	v_xad_u32 v4, v0, -1, v4
	s_add_i32 s3, s10, s22
	v_sub_u32_e32 v3, v4, v3
	s_movk_i32 s10, 0x1b00
	s_movk_i32 s12, 0x1aff
	v_cmp_gt_u32_e64 s[10:11], s10, v3
	v_cmp_lt_u32_e32 vcc, s12, v3
	s_and_saveexec_b64 s[12:13], vcc
	s_cbranch_execz .LBB5_63
; %bb.58:
	v_and_b32_e32 v4, 0xffffff00, v3
	v_add_u32_e32 v4, v2, v4
	v_cmp_ge_i32_e32 vcc, v4, v2
	s_mov_b64 s[16:17], -1
	s_and_saveexec_b64 s[14:15], vcc
	s_cbranch_execz .LBB5_62
; %bb.59:
	v_lshrrev_b32_e32 v3, 8, v3
	v_add_u32_e32 v6, 1, v3
	v_and_b32_e32 v7, 0x1fffffe, v6
	v_add_u32_e32 v3, 0x100, v2
	s_mov_b64 s[16:17], 0
	v_mov_b32_e32 v9, s3
	v_mov_b32_e32 v8, v7
	v_mov_b64_e32 v[4:5], v[2:3]
.LBB5_60:                               ; =>This Inner Loop Header: Depth=1
	v_add_u32_e32 v8, -2, v8
	v_ashrrev_i32_e32 v11, 31, v5
	v_mov_b32_e32 v10, v5
	v_ashrrev_i32_e32 v13, 31, v4
	v_mov_b32_e32 v12, v4
	v_cmp_eq_u32_e32 vcc, 0, v8
	v_add_u32_e32 v5, 0x200, v5
	v_add_u32_e32 v4, 0x200, v4
	v_lshl_add_u64 v[12:13], v[12:13], 2, s[8:9]
	v_lshl_add_u64 v[10:11], v[10:11], 2, s[8:9]
	s_or_b64 s[16:17], vcc, s[16:17]
	global_store_dword v[12:13], v9, off
	global_store_dword v[10:11], v9, off
	s_andn2_b64 exec, exec, s[16:17]
	s_cbranch_execnz .LBB5_60
; %bb.61:
	s_or_b64 exec, exec, s[16:17]
	v_cmp_ne_u32_e32 vcc, v6, v7
	v_lshl_add_u32 v2, v7, 8, v2
	s_orn2_b64 s[16:17], vcc, exec
.LBB5_62:
	s_or_b64 exec, exec, s[14:15]
	s_andn2_b64 s[10:11], s[10:11], exec
	s_and_b64 s[14:15], s[16:17], exec
	s_or_b64 s[10:11], s[10:11], s[14:15]
.LBB5_63:
	s_or_b64 exec, exec, s[12:13]
	s_and_b64 exec, exec, s[10:11]
	s_cbranch_execz .LBB5_66
; %bb.64:
	s_mov_b64 s[10:11], 0
	v_mov_b32_e32 v4, s3
.LBB5_65:                               ; =>This Inner Loop Header: Depth=1
	v_ashrrev_i32_e32 v3, 31, v2
	v_lshl_add_u64 v[6:7], v[2:3], 2, s[8:9]
	v_add_u32_e32 v2, 0x100, v2
	v_cmp_ge_i32_e32 vcc, v2, v1
	s_or_b64 s[10:11], vcc, s[10:11]
	global_store_dword v[6:7], v4, off
	s_andn2_b64 exec, exec, s[10:11]
	s_cbranch_execnz .LBB5_65
.LBB5_66:
	s_or_b64 exec, exec, s[0:1]
.LBB5_67:
	v_mov_b32_e32 v1, 0
	ds_read_b32 v2, v1 offset:12
	s_waitcnt lgkmcnt(0)
	v_cmp_ne_u32_e32 vcc, 0, v2
	s_cbranch_vccnz .LBB5_82
; %bb.68:
	s_or_b32 s10, s2, 3
	s_cmp_lt_i32 s10, s23
	s_cselect_b64 s[0:1], -1, 0
	s_cmp_ge_i32 s10, s23
	s_cbranch_scc0 .LBB5_71
; %bb.69:
	s_andn2_b64 vcc, exec, s[0:1]
	v_mov_b32_e32 v4, 0
	s_cbranch_vccz .LBB5_72
.LBB5_70:
	v_add_u32_e32 v2, v1, v0
	v_cmp_lt_i32_e32 vcc, v2, v4
	s_and_saveexec_b64 s[0:1], vcc
	s_cbranch_execnz .LBB5_73
	s_branch .LBB5_82
.LBB5_71:
	s_ashr_i32 s3, s2, 31
	s_lshl_b64 s[12:13], s[2:3], 2
	s_add_u32 s4, s4, s12
	s_addc_u32 s5, s5, s13
	v_mov_b32_e32 v1, 0
	global_load_dword v1, v1, s[4:5] offset:12
	s_waitcnt vmcnt(0)
	v_subrev_u32_e32 v1, s22, v1
	s_andn2_b64 vcc, exec, s[0:1]
	v_mov_b32_e32 v4, 0
	s_cbranch_vccnz .LBB5_70
.LBB5_72:
	s_ashr_i32 s3, s2, 31
	s_lshl_b64 s[0:1], s[2:3], 2
	s_add_u32 s0, s6, s0
	s_addc_u32 s1, s7, s1
	v_mov_b32_e32 v2, 0
	global_load_dword v2, v2, s[0:1] offset:12
	s_waitcnt vmcnt(0)
	v_subrev_u32_e32 v4, s22, v2
	v_add_u32_e32 v2, v1, v0
	v_cmp_lt_i32_e32 vcc, v2, v4
	s_and_saveexec_b64 s[0:1], vcc
	s_cbranch_execz .LBB5_82
.LBB5_73:
	v_add_u32_e32 v3, 0x100, v2
	v_max_i32_e32 v3, v4, v3
	v_xad_u32 v0, v0, -1, v3
	v_sub_u32_e32 v0, v0, v1
	s_movk_i32 s0, 0x1b00
	s_movk_i32 s2, 0x1aff
	s_add_i32 s10, s10, s22
	v_cmp_gt_u32_e64 s[0:1], s0, v0
	v_cmp_lt_u32_e32 vcc, s2, v0
	s_and_saveexec_b64 s[2:3], vcc
	s_cbranch_execz .LBB5_79
; %bb.74:
	v_and_b32_e32 v1, 0xffffff00, v0
	v_add_u32_e32 v1, v2, v1
	v_cmp_ge_i32_e32 vcc, v1, v2
	s_mov_b64 s[6:7], -1
	s_and_saveexec_b64 s[4:5], vcc
	s_cbranch_execz .LBB5_78
; %bb.75:
	v_lshrrev_b32_e32 v0, 8, v0
	v_add_u32_e32 v5, 1, v0
	v_and_b32_e32 v6, 0x1fffffe, v5
	v_add_u32_e32 v3, 0x100, v2
	s_mov_b64 s[6:7], 0
	v_mov_b32_e32 v8, s10
	v_mov_b32_e32 v7, v6
	v_mov_b64_e32 v[0:1], v[2:3]
.LBB5_76:                               ; =>This Inner Loop Header: Depth=1
	v_add_u32_e32 v7, -2, v7
	v_ashrrev_i32_e32 v11, 31, v1
	v_mov_b32_e32 v10, v1
	v_ashrrev_i32_e32 v13, 31, v0
	v_mov_b32_e32 v12, v0
	v_cmp_eq_u32_e32 vcc, 0, v7
	v_add_u32_e32 v1, 0x200, v1
	v_add_u32_e32 v0, 0x200, v0
	v_lshl_add_u64 v[12:13], v[12:13], 2, s[8:9]
	v_lshl_add_u64 v[10:11], v[10:11], 2, s[8:9]
	s_or_b64 s[6:7], vcc, s[6:7]
	global_store_dword v[12:13], v8, off
	global_store_dword v[10:11], v8, off
	s_andn2_b64 exec, exec, s[6:7]
	s_cbranch_execnz .LBB5_76
; %bb.77:
	s_or_b64 exec, exec, s[6:7]
	v_cmp_ne_u32_e32 vcc, v5, v6
	v_lshl_add_u32 v2, v6, 8, v2
	s_orn2_b64 s[6:7], vcc, exec
.LBB5_78:
	s_or_b64 exec, exec, s[4:5]
	s_andn2_b64 s[0:1], s[0:1], exec
	s_and_b64 s[4:5], s[6:7], exec
	s_or_b64 s[0:1], s[0:1], s[4:5]
.LBB5_79:
	s_or_b64 exec, exec, s[2:3]
	s_and_b64 exec, exec, s[0:1]
	s_cbranch_execz .LBB5_82
; %bb.80:
	s_mov_b64 s[0:1], 0
	v_mov_b32_e32 v0, s10
.LBB5_81:                               ; =>This Inner Loop Header: Depth=1
	v_ashrrev_i32_e32 v3, 31, v2
	v_lshl_add_u64 v[6:7], v[2:3], 2, s[8:9]
	v_add_u32_e32 v2, 0x100, v2
	v_cmp_ge_i32_e32 vcc, v2, v4
	s_or_b64 s[0:1], vcc, s[0:1]
	global_store_dword v[6:7], v0, off
	s_andn2_b64 exec, exec, s[0:1]
	s_cbranch_execnz .LBB5_81
.LBB5_82:
	s_endpgm
	.section	.rodata,"a",@progbits
	.p2align	6, 0x0
	.amdhsa_kernel _ZN9rocsparseL14csr2coo_kernelILj256ELj64EiiEEvT2_PKT1_S4_PS1_21rocsparse_index_base_
		.amdhsa_group_segment_fixed_size 20
		.amdhsa_private_segment_fixed_size 0
		.amdhsa_kernarg_size 36
		.amdhsa_user_sgpr_count 2
		.amdhsa_user_sgpr_dispatch_ptr 0
		.amdhsa_user_sgpr_queue_ptr 0
		.amdhsa_user_sgpr_kernarg_segment_ptr 1
		.amdhsa_user_sgpr_dispatch_id 0
		.amdhsa_user_sgpr_kernarg_preload_length 0
		.amdhsa_user_sgpr_kernarg_preload_offset 0
		.amdhsa_user_sgpr_private_segment_size 0
		.amdhsa_uses_dynamic_stack 0
		.amdhsa_enable_private_segment 0
		.amdhsa_system_sgpr_workgroup_id_x 1
		.amdhsa_system_sgpr_workgroup_id_y 0
		.amdhsa_system_sgpr_workgroup_id_z 0
		.amdhsa_system_sgpr_workgroup_info 0
		.amdhsa_system_vgpr_workitem_id 0
		.amdhsa_next_free_vgpr 16
		.amdhsa_next_free_sgpr 24
		.amdhsa_accum_offset 16
		.amdhsa_reserve_vcc 1
		.amdhsa_float_round_mode_32 0
		.amdhsa_float_round_mode_16_64 0
		.amdhsa_float_denorm_mode_32 3
		.amdhsa_float_denorm_mode_16_64 3
		.amdhsa_dx10_clamp 1
		.amdhsa_ieee_mode 1
		.amdhsa_fp16_overflow 0
		.amdhsa_tg_split 0
		.amdhsa_exception_fp_ieee_invalid_op 0
		.amdhsa_exception_fp_denorm_src 0
		.amdhsa_exception_fp_ieee_div_zero 0
		.amdhsa_exception_fp_ieee_overflow 0
		.amdhsa_exception_fp_ieee_underflow 0
		.amdhsa_exception_fp_ieee_inexact 0
		.amdhsa_exception_int_div_zero 0
	.end_amdhsa_kernel
	.section	.text._ZN9rocsparseL14csr2coo_kernelILj256ELj64EiiEEvT2_PKT1_S4_PS1_21rocsparse_index_base_,"axG",@progbits,_ZN9rocsparseL14csr2coo_kernelILj256ELj64EiiEEvT2_PKT1_S4_PS1_21rocsparse_index_base_,comdat
.Lfunc_end5:
	.size	_ZN9rocsparseL14csr2coo_kernelILj256ELj64EiiEEvT2_PKT1_S4_PS1_21rocsparse_index_base_, .Lfunc_end5-_ZN9rocsparseL14csr2coo_kernelILj256ELj64EiiEEvT2_PKT1_S4_PS1_21rocsparse_index_base_
                                        ; -- End function
	.set _ZN9rocsparseL14csr2coo_kernelILj256ELj64EiiEEvT2_PKT1_S4_PS1_21rocsparse_index_base_.num_vgpr, 16
	.set _ZN9rocsparseL14csr2coo_kernelILj256ELj64EiiEEvT2_PKT1_S4_PS1_21rocsparse_index_base_.num_agpr, 0
	.set _ZN9rocsparseL14csr2coo_kernelILj256ELj64EiiEEvT2_PKT1_S4_PS1_21rocsparse_index_base_.numbered_sgpr, 24
	.set _ZN9rocsparseL14csr2coo_kernelILj256ELj64EiiEEvT2_PKT1_S4_PS1_21rocsparse_index_base_.num_named_barrier, 0
	.set _ZN9rocsparseL14csr2coo_kernelILj256ELj64EiiEEvT2_PKT1_S4_PS1_21rocsparse_index_base_.private_seg_size, 0
	.set _ZN9rocsparseL14csr2coo_kernelILj256ELj64EiiEEvT2_PKT1_S4_PS1_21rocsparse_index_base_.uses_vcc, 1
	.set _ZN9rocsparseL14csr2coo_kernelILj256ELj64EiiEEvT2_PKT1_S4_PS1_21rocsparse_index_base_.uses_flat_scratch, 0
	.set _ZN9rocsparseL14csr2coo_kernelILj256ELj64EiiEEvT2_PKT1_S4_PS1_21rocsparse_index_base_.has_dyn_sized_stack, 0
	.set _ZN9rocsparseL14csr2coo_kernelILj256ELj64EiiEEvT2_PKT1_S4_PS1_21rocsparse_index_base_.has_recursion, 0
	.set _ZN9rocsparseL14csr2coo_kernelILj256ELj64EiiEEvT2_PKT1_S4_PS1_21rocsparse_index_base_.has_indirect_call, 0
	.section	.AMDGPU.csdata,"",@progbits
; Kernel info:
; codeLenInByte = 2564
; TotalNumSgprs: 30
; NumVgprs: 16
; NumAgprs: 0
; TotalNumVgprs: 16
; ScratchSize: 0
; MemoryBound: 0
; FloatMode: 240
; IeeeMode: 1
; LDSByteSize: 20 bytes/workgroup (compile time only)
; SGPRBlocks: 3
; VGPRBlocks: 1
; NumSGPRsForWavesPerEU: 30
; NumVGPRsForWavesPerEU: 16
; AccumOffset: 16
; Occupancy: 8
; WaveLimiterHint : 0
; COMPUTE_PGM_RSRC2:SCRATCH_EN: 0
; COMPUTE_PGM_RSRC2:USER_SGPR: 2
; COMPUTE_PGM_RSRC2:TRAP_HANDLER: 0
; COMPUTE_PGM_RSRC2:TGID_X_EN: 1
; COMPUTE_PGM_RSRC2:TGID_Y_EN: 0
; COMPUTE_PGM_RSRC2:TGID_Z_EN: 0
; COMPUTE_PGM_RSRC2:TIDIG_COMP_CNT: 0
; COMPUTE_PGM_RSRC3_GFX90A:ACCUM_OFFSET: 3
; COMPUTE_PGM_RSRC3_GFX90A:TG_SPLIT: 0
	.section	.text._ZN9rocsparseL14csr2coo_kernelILj256ELj128EiiEEvT2_PKT1_S4_PS1_21rocsparse_index_base_,"axG",@progbits,_ZN9rocsparseL14csr2coo_kernelILj256ELj128EiiEEvT2_PKT1_S4_PS1_21rocsparse_index_base_,comdat
	.globl	_ZN9rocsparseL14csr2coo_kernelILj256ELj128EiiEEvT2_PKT1_S4_PS1_21rocsparse_index_base_ ; -- Begin function _ZN9rocsparseL14csr2coo_kernelILj256ELj128EiiEEvT2_PKT1_S4_PS1_21rocsparse_index_base_
	.p2align	8
	.type	_ZN9rocsparseL14csr2coo_kernelILj256ELj128EiiEEvT2_PKT1_S4_PS1_21rocsparse_index_base_,@function
_ZN9rocsparseL14csr2coo_kernelILj256ELj128EiiEEvT2_PKT1_S4_PS1_21rocsparse_index_base_: ; @_ZN9rocsparseL14csr2coo_kernelILj256ELj128EiiEEvT2_PKT1_S4_PS1_21rocsparse_index_base_
; %bb.0:
	s_load_dword s23, s[0:1], 0x0
	s_load_dwordx4 s[4:7], s[0:1], 0x8
	s_load_dwordx2 s[8:9], s[0:1], 0x18
	s_load_dword s22, s[0:1], 0x20
	v_lshrrev_b32_e32 v1, 7, v0
	s_lshl_b32 s2, s2, 1
	v_or_b32_e32 v4, s2, v1
	v_mov_b32_e32 v2, 1
	v_mov_b32_e32 v6, 0
	s_waitcnt lgkmcnt(0)
	v_cmp_gt_i32_e32 vcc, s23, v4
	v_ashrrev_i32_e32 v5, 31, v4
	v_mov_b32_e32 v3, 0
	ds_write_b32 v6, v2 offset:8
	s_waitcnt lgkmcnt(0)
	s_barrier
	s_and_saveexec_b64 s[0:1], vcc
	s_cbranch_execz .LBB6_2
; %bb.1:
	v_lshl_add_u64 v[2:3], v[4:5], 2, s[4:5]
	global_load_dword v2, v[2:3], off
	s_waitcnt vmcnt(0)
	v_subrev_u32_e32 v3, s22, v2
.LBB6_2:
	s_or_b64 exec, exec, s[0:1]
	s_and_saveexec_b64 s[0:1], vcc
	s_cbranch_execz .LBB6_4
; %bb.3:
	v_lshl_add_u64 v[6:7], v[4:5], 2, s[6:7]
	global_load_dword v2, v[6:7], off
	s_waitcnt vmcnt(0)
	v_subrev_u32_e32 v6, s22, v2
.LBB6_4:
	s_or_b64 exec, exec, s[0:1]
	v_sub_u32_e32 v2, v6, v3
	s_movk_i32 s0, 0x401
	v_cmp_gt_u32_e32 vcc, s0, v2
	s_movk_i32 s0, 0x400
	v_cmp_lt_u32_e64 s[0:1], s0, v2
	s_and_saveexec_b64 s[10:11], s[0:1]
	s_xor_b64 s[0:1], exec, s[10:11]
; %bb.5:
	v_mov_b32_e32 v2, 0
	ds_write_b32 v2, v2 offset:8
                                        ; implicit-def: $vgpr3
                                        ; implicit-def: $vgpr6
                                        ; implicit-def: $vgpr4
; %bb.6:
	s_andn2_saveexec_b64 s[10:11], s[0:1]
	s_cbranch_execz .LBB6_18
; %bb.7:
	v_and_b32_e32 v5, 0x7f, v0
	v_add_u32_e32 v2, v3, v5
	v_cmp_lt_i32_e64 s[0:1], v2, v6
	s_and_saveexec_b64 s[12:13], s[0:1]
	s_cbranch_execz .LBB6_17
; %bb.8:
	v_add_u32_e32 v7, s22, v4
	v_add_u32_e32 v4, 0x80, v2
	v_max_i32_e32 v4, v6, v4
	v_xad_u32 v3, v3, -1, v4
	v_sub_u32_e32 v3, v3, v5
	s_movk_i32 s0, 0xd80
	v_cmp_gt_u32_e64 s[14:15], s0, v3
	s_movk_i32 s0, 0xd7f
	v_cmp_lt_u32_e64 s[0:1], s0, v3
	s_and_saveexec_b64 s[16:17], s[0:1]
	s_cbranch_execz .LBB6_14
; %bb.9:
	v_and_b32_e32 v4, 0xffffff80, v3
	v_add_u32_e32 v4, v2, v4
	v_cmp_ge_i32_e64 s[0:1], v4, v2
	s_mov_b64 s[20:21], -1
	s_and_saveexec_b64 s[18:19], s[0:1]
	s_cbranch_execz .LBB6_13
; %bb.10:
	v_lshrrev_b32_e32 v3, 7, v3
	v_add_u32_e32 v8, 1, v3
	v_and_b32_e32 v9, 0x3fffffe, v8
	v_add_u32_e32 v3, 0x80, v2
	s_mov_b64 s[20:21], 0
	v_mov_b32_e32 v10, v9
	v_mov_b64_e32 v[4:5], v[2:3]
.LBB6_11:                               ; =>This Inner Loop Header: Depth=1
	v_add_u32_e32 v10, -2, v10
	v_ashrrev_i32_e32 v13, 31, v5
	v_mov_b32_e32 v12, v5
	v_ashrrev_i32_e32 v15, 31, v4
	v_mov_b32_e32 v14, v4
	v_cmp_eq_u32_e64 s[0:1], 0, v10
	v_add_u32_e32 v5, 0x100, v5
	v_add_u32_e32 v4, 0x100, v4
	v_lshl_add_u64 v[14:15], v[14:15], 2, s[8:9]
	v_lshl_add_u64 v[12:13], v[12:13], 2, s[8:9]
	s_or_b64 s[20:21], s[0:1], s[20:21]
	global_store_dword v[14:15], v7, off
	global_store_dword v[12:13], v7, off
	s_andn2_b64 exec, exec, s[20:21]
	s_cbranch_execnz .LBB6_11
; %bb.12:
	s_or_b64 exec, exec, s[20:21]
	v_cmp_ne_u32_e64 s[0:1], v8, v9
	v_lshl_add_u32 v2, v9, 7, v2
	s_orn2_b64 s[20:21], s[0:1], exec
.LBB6_13:
	s_or_b64 exec, exec, s[18:19]
	s_andn2_b64 s[0:1], s[14:15], exec
	s_and_b64 s[14:15], s[20:21], exec
	s_or_b64 s[14:15], s[0:1], s[14:15]
.LBB6_14:
	s_or_b64 exec, exec, s[16:17]
	s_and_b64 exec, exec, s[14:15]
	s_cbranch_execz .LBB6_17
; %bb.15:
	s_mov_b64 s[14:15], 0
.LBB6_16:                               ; =>This Inner Loop Header: Depth=1
	v_ashrrev_i32_e32 v3, 31, v2
	v_lshl_add_u64 v[4:5], v[2:3], 2, s[8:9]
	v_add_u32_e32 v2, 0x80, v2
	v_cmp_ge_i32_e64 s[0:1], v2, v6
	s_or_b64 s[14:15], s[0:1], s[14:15]
	global_store_dword v[4:5], v7, off
	s_andn2_b64 exec, exec, s[14:15]
	s_cbranch_execnz .LBB6_16
.LBB6_17:
	s_or_b64 exec, exec, s[12:13]
.LBB6_18:
	s_or_b64 exec, exec, s[10:11]
	v_cndmask_b32_e64 v2, 0, 1, vcc
	v_lshlrev_b32_e32 v1, 2, v1
	ds_write_b32 v1, v2
	v_mov_b32_e32 v1, 0
	s_waitcnt lgkmcnt(0)
	s_barrier
	ds_read_b32 v2, v1 offset:8
	s_waitcnt lgkmcnt(0)
	v_cmp_ne_u32_e32 vcc, 0, v2
	s_cbranch_vccnz .LBB6_50
; %bb.19:
	ds_read_b32 v1, v1
	s_waitcnt lgkmcnt(0)
	v_cmp_ne_u32_e32 vcc, 0, v1
	s_cbranch_vccnz .LBB6_35
; %bb.20:
	s_cmp_lt_i32 s2, s23
	s_cselect_b64 s[0:1], -1, 0
	s_cmp_ge_i32 s2, s23
	v_mov_b32_e32 v1, 0
	v_mov_b32_e32 v3, 0
	s_cbranch_scc0 .LBB6_23
; %bb.21:
	s_andn2_b64 vcc, exec, s[0:1]
	s_cbranch_vccz .LBB6_24
.LBB6_22:
	v_add_u32_e32 v2, v3, v0
	v_cmp_lt_i32_e32 vcc, v2, v1
	s_and_saveexec_b64 s[0:1], vcc
	s_cbranch_execnz .LBB6_25
	s_branch .LBB6_34
.LBB6_23:
	s_ashr_i32 s3, s2, 31
	s_lshl_b64 s[10:11], s[2:3], 2
	s_add_u32 s10, s4, s10
	s_addc_u32 s11, s5, s11
	v_mov_b32_e32 v2, 0
	global_load_dword v2, v2, s[10:11]
	s_waitcnt vmcnt(0)
	v_subrev_u32_e32 v3, s22, v2
	s_andn2_b64 vcc, exec, s[0:1]
	s_cbranch_vccnz .LBB6_22
.LBB6_24:
	s_ashr_i32 s3, s2, 31
	s_lshl_b64 s[0:1], s[2:3], 2
	s_add_u32 s0, s6, s0
	s_addc_u32 s1, s7, s1
	v_mov_b32_e32 v1, 0
	global_load_dword v1, v1, s[0:1]
	s_waitcnt vmcnt(0)
	v_subrev_u32_e32 v1, s22, v1
	v_add_u32_e32 v2, v3, v0
	v_cmp_lt_i32_e32 vcc, v2, v1
	s_and_saveexec_b64 s[0:1], vcc
	s_cbranch_execz .LBB6_34
.LBB6_25:
	v_add_u32_e32 v4, 0x100, v2
	v_max_i32_e32 v4, v1, v4
	v_xad_u32 v4, v0, -1, v4
	v_sub_u32_e32 v3, v4, v3
	s_movk_i32 s10, 0x1b00
	s_movk_i32 s12, 0x1aff
	s_add_i32 s3, s2, s22
	v_cmp_gt_u32_e64 s[10:11], s10, v3
	v_cmp_lt_u32_e32 vcc, s12, v3
	s_and_saveexec_b64 s[12:13], vcc
	s_cbranch_execz .LBB6_31
; %bb.26:
	v_and_b32_e32 v4, 0xffffff00, v3
	v_add_u32_e32 v4, v2, v4
	v_cmp_ge_i32_e32 vcc, v4, v2
	s_mov_b64 s[16:17], -1
	s_and_saveexec_b64 s[14:15], vcc
	s_cbranch_execz .LBB6_30
; %bb.27:
	v_lshrrev_b32_e32 v3, 8, v3
	v_add_u32_e32 v6, 1, v3
	v_and_b32_e32 v7, 0x1fffffe, v6
	v_add_u32_e32 v3, 0x100, v2
	s_mov_b64 s[16:17], 0
	v_mov_b32_e32 v9, s3
	v_mov_b32_e32 v8, v7
	v_mov_b64_e32 v[4:5], v[2:3]
.LBB6_28:                               ; =>This Inner Loop Header: Depth=1
	v_add_u32_e32 v8, -2, v8
	v_ashrrev_i32_e32 v11, 31, v5
	v_mov_b32_e32 v10, v5
	v_ashrrev_i32_e32 v13, 31, v4
	v_mov_b32_e32 v12, v4
	v_cmp_eq_u32_e32 vcc, 0, v8
	v_add_u32_e32 v5, 0x200, v5
	v_add_u32_e32 v4, 0x200, v4
	v_lshl_add_u64 v[12:13], v[12:13], 2, s[8:9]
	v_lshl_add_u64 v[10:11], v[10:11], 2, s[8:9]
	s_or_b64 s[16:17], vcc, s[16:17]
	global_store_dword v[12:13], v9, off
	global_store_dword v[10:11], v9, off
	s_andn2_b64 exec, exec, s[16:17]
	s_cbranch_execnz .LBB6_28
; %bb.29:
	s_or_b64 exec, exec, s[16:17]
	v_cmp_ne_u32_e32 vcc, v6, v7
	v_lshl_add_u32 v2, v7, 8, v2
	s_orn2_b64 s[16:17], vcc, exec
.LBB6_30:
	s_or_b64 exec, exec, s[14:15]
	s_andn2_b64 s[10:11], s[10:11], exec
	s_and_b64 s[14:15], s[16:17], exec
	s_or_b64 s[10:11], s[10:11], s[14:15]
.LBB6_31:
	s_or_b64 exec, exec, s[12:13]
	s_and_b64 exec, exec, s[10:11]
	s_cbranch_execz .LBB6_34
; %bb.32:
	s_mov_b64 s[10:11], 0
	v_mov_b32_e32 v4, s3
.LBB6_33:                               ; =>This Inner Loop Header: Depth=1
	v_ashrrev_i32_e32 v3, 31, v2
	v_lshl_add_u64 v[6:7], v[2:3], 2, s[8:9]
	v_add_u32_e32 v2, 0x100, v2
	v_cmp_ge_i32_e32 vcc, v2, v1
	s_or_b64 s[10:11], vcc, s[10:11]
	global_store_dword v[6:7], v4, off
	s_andn2_b64 exec, exec, s[10:11]
	s_cbranch_execnz .LBB6_33
.LBB6_34:
	s_or_b64 exec, exec, s[0:1]
.LBB6_35:
	v_mov_b32_e32 v1, 0
	ds_read_b32 v2, v1 offset:4
	s_waitcnt lgkmcnt(0)
	v_cmp_ne_u32_e32 vcc, 0, v2
	s_cbranch_vccnz .LBB6_50
; %bb.36:
	s_or_b32 s10, s2, 1
	s_cmp_lt_i32 s10, s23
	s_cselect_b64 s[0:1], -1, 0
	s_cmp_ge_i32 s10, s23
	s_cbranch_scc0 .LBB6_39
; %bb.37:
	s_andn2_b64 vcc, exec, s[0:1]
	v_mov_b32_e32 v4, 0
	s_cbranch_vccz .LBB6_40
.LBB6_38:
	v_add_u32_e32 v2, v1, v0
	v_cmp_lt_i32_e32 vcc, v2, v4
	s_and_saveexec_b64 s[0:1], vcc
	s_cbranch_execnz .LBB6_41
	s_branch .LBB6_50
.LBB6_39:
	s_ashr_i32 s3, s2, 31
	s_lshl_b64 s[12:13], s[2:3], 2
	s_add_u32 s4, s4, s12
	s_addc_u32 s5, s5, s13
	v_mov_b32_e32 v1, 0
	global_load_dword v1, v1, s[4:5] offset:4
	s_waitcnt vmcnt(0)
	v_subrev_u32_e32 v1, s22, v1
	s_andn2_b64 vcc, exec, s[0:1]
	v_mov_b32_e32 v4, 0
	s_cbranch_vccnz .LBB6_38
.LBB6_40:
	s_ashr_i32 s3, s2, 31
	s_lshl_b64 s[0:1], s[2:3], 2
	s_add_u32 s0, s6, s0
	s_addc_u32 s1, s7, s1
	v_mov_b32_e32 v2, 0
	global_load_dword v2, v2, s[0:1] offset:4
	s_waitcnt vmcnt(0)
	v_subrev_u32_e32 v4, s22, v2
	v_add_u32_e32 v2, v1, v0
	v_cmp_lt_i32_e32 vcc, v2, v4
	s_and_saveexec_b64 s[0:1], vcc
	s_cbranch_execz .LBB6_50
.LBB6_41:
	v_add_u32_e32 v3, 0x100, v2
	v_max_i32_e32 v3, v4, v3
	v_xad_u32 v0, v0, -1, v3
	v_sub_u32_e32 v0, v0, v1
	s_movk_i32 s0, 0x1b00
	s_movk_i32 s2, 0x1aff
	s_add_i32 s10, s10, s22
	v_cmp_gt_u32_e64 s[0:1], s0, v0
	v_cmp_lt_u32_e32 vcc, s2, v0
	s_and_saveexec_b64 s[2:3], vcc
	s_cbranch_execz .LBB6_47
; %bb.42:
	v_and_b32_e32 v1, 0xffffff00, v0
	v_add_u32_e32 v1, v2, v1
	v_cmp_ge_i32_e32 vcc, v1, v2
	s_mov_b64 s[6:7], -1
	s_and_saveexec_b64 s[4:5], vcc
	s_cbranch_execz .LBB6_46
; %bb.43:
	v_lshrrev_b32_e32 v0, 8, v0
	v_add_u32_e32 v5, 1, v0
	v_and_b32_e32 v6, 0x1fffffe, v5
	v_add_u32_e32 v3, 0x100, v2
	s_mov_b64 s[6:7], 0
	v_mov_b32_e32 v8, s10
	v_mov_b32_e32 v7, v6
	v_mov_b64_e32 v[0:1], v[2:3]
.LBB6_44:                               ; =>This Inner Loop Header: Depth=1
	v_add_u32_e32 v7, -2, v7
	v_ashrrev_i32_e32 v11, 31, v1
	v_mov_b32_e32 v10, v1
	v_ashrrev_i32_e32 v13, 31, v0
	v_mov_b32_e32 v12, v0
	v_cmp_eq_u32_e32 vcc, 0, v7
	v_add_u32_e32 v1, 0x200, v1
	v_add_u32_e32 v0, 0x200, v0
	v_lshl_add_u64 v[12:13], v[12:13], 2, s[8:9]
	v_lshl_add_u64 v[10:11], v[10:11], 2, s[8:9]
	s_or_b64 s[6:7], vcc, s[6:7]
	global_store_dword v[12:13], v8, off
	global_store_dword v[10:11], v8, off
	s_andn2_b64 exec, exec, s[6:7]
	s_cbranch_execnz .LBB6_44
; %bb.45:
	s_or_b64 exec, exec, s[6:7]
	v_cmp_ne_u32_e32 vcc, v5, v6
	v_lshl_add_u32 v2, v6, 8, v2
	s_orn2_b64 s[6:7], vcc, exec
.LBB6_46:
	s_or_b64 exec, exec, s[4:5]
	s_andn2_b64 s[0:1], s[0:1], exec
	s_and_b64 s[4:5], s[6:7], exec
	s_or_b64 s[0:1], s[0:1], s[4:5]
.LBB6_47:
	s_or_b64 exec, exec, s[2:3]
	s_and_b64 exec, exec, s[0:1]
	s_cbranch_execz .LBB6_50
; %bb.48:
	s_mov_b64 s[0:1], 0
	v_mov_b32_e32 v0, s10
.LBB6_49:                               ; =>This Inner Loop Header: Depth=1
	v_ashrrev_i32_e32 v3, 31, v2
	v_lshl_add_u64 v[6:7], v[2:3], 2, s[8:9]
	v_add_u32_e32 v2, 0x100, v2
	v_cmp_ge_i32_e32 vcc, v2, v4
	s_or_b64 s[0:1], vcc, s[0:1]
	global_store_dword v[6:7], v0, off
	s_andn2_b64 exec, exec, s[0:1]
	s_cbranch_execnz .LBB6_49
.LBB6_50:
	s_endpgm
	.section	.rodata,"a",@progbits
	.p2align	6, 0x0
	.amdhsa_kernel _ZN9rocsparseL14csr2coo_kernelILj256ELj128EiiEEvT2_PKT1_S4_PS1_21rocsparse_index_base_
		.amdhsa_group_segment_fixed_size 12
		.amdhsa_private_segment_fixed_size 0
		.amdhsa_kernarg_size 36
		.amdhsa_user_sgpr_count 2
		.amdhsa_user_sgpr_dispatch_ptr 0
		.amdhsa_user_sgpr_queue_ptr 0
		.amdhsa_user_sgpr_kernarg_segment_ptr 1
		.amdhsa_user_sgpr_dispatch_id 0
		.amdhsa_user_sgpr_kernarg_preload_length 0
		.amdhsa_user_sgpr_kernarg_preload_offset 0
		.amdhsa_user_sgpr_private_segment_size 0
		.amdhsa_uses_dynamic_stack 0
		.amdhsa_enable_private_segment 0
		.amdhsa_system_sgpr_workgroup_id_x 1
		.amdhsa_system_sgpr_workgroup_id_y 0
		.amdhsa_system_sgpr_workgroup_id_z 0
		.amdhsa_system_sgpr_workgroup_info 0
		.amdhsa_system_vgpr_workitem_id 0
		.amdhsa_next_free_vgpr 16
		.amdhsa_next_free_sgpr 24
		.amdhsa_accum_offset 16
		.amdhsa_reserve_vcc 1
		.amdhsa_float_round_mode_32 0
		.amdhsa_float_round_mode_16_64 0
		.amdhsa_float_denorm_mode_32 3
		.amdhsa_float_denorm_mode_16_64 3
		.amdhsa_dx10_clamp 1
		.amdhsa_ieee_mode 1
		.amdhsa_fp16_overflow 0
		.amdhsa_tg_split 0
		.amdhsa_exception_fp_ieee_invalid_op 0
		.amdhsa_exception_fp_denorm_src 0
		.amdhsa_exception_fp_ieee_div_zero 0
		.amdhsa_exception_fp_ieee_overflow 0
		.amdhsa_exception_fp_ieee_underflow 0
		.amdhsa_exception_fp_ieee_inexact 0
		.amdhsa_exception_int_div_zero 0
	.end_amdhsa_kernel
	.section	.text._ZN9rocsparseL14csr2coo_kernelILj256ELj128EiiEEvT2_PKT1_S4_PS1_21rocsparse_index_base_,"axG",@progbits,_ZN9rocsparseL14csr2coo_kernelILj256ELj128EiiEEvT2_PKT1_S4_PS1_21rocsparse_index_base_,comdat
.Lfunc_end6:
	.size	_ZN9rocsparseL14csr2coo_kernelILj256ELj128EiiEEvT2_PKT1_S4_PS1_21rocsparse_index_base_, .Lfunc_end6-_ZN9rocsparseL14csr2coo_kernelILj256ELj128EiiEEvT2_PKT1_S4_PS1_21rocsparse_index_base_
                                        ; -- End function
	.set _ZN9rocsparseL14csr2coo_kernelILj256ELj128EiiEEvT2_PKT1_S4_PS1_21rocsparse_index_base_.num_vgpr, 16
	.set _ZN9rocsparseL14csr2coo_kernelILj256ELj128EiiEEvT2_PKT1_S4_PS1_21rocsparse_index_base_.num_agpr, 0
	.set _ZN9rocsparseL14csr2coo_kernelILj256ELj128EiiEEvT2_PKT1_S4_PS1_21rocsparse_index_base_.numbered_sgpr, 24
	.set _ZN9rocsparseL14csr2coo_kernelILj256ELj128EiiEEvT2_PKT1_S4_PS1_21rocsparse_index_base_.num_named_barrier, 0
	.set _ZN9rocsparseL14csr2coo_kernelILj256ELj128EiiEEvT2_PKT1_S4_PS1_21rocsparse_index_base_.private_seg_size, 0
	.set _ZN9rocsparseL14csr2coo_kernelILj256ELj128EiiEEvT2_PKT1_S4_PS1_21rocsparse_index_base_.uses_vcc, 1
	.set _ZN9rocsparseL14csr2coo_kernelILj256ELj128EiiEEvT2_PKT1_S4_PS1_21rocsparse_index_base_.uses_flat_scratch, 0
	.set _ZN9rocsparseL14csr2coo_kernelILj256ELj128EiiEEvT2_PKT1_S4_PS1_21rocsparse_index_base_.has_dyn_sized_stack, 0
	.set _ZN9rocsparseL14csr2coo_kernelILj256ELj128EiiEEvT2_PKT1_S4_PS1_21rocsparse_index_base_.has_recursion, 0
	.set _ZN9rocsparseL14csr2coo_kernelILj256ELj128EiiEEvT2_PKT1_S4_PS1_21rocsparse_index_base_.has_indirect_call, 0
	.section	.AMDGPU.csdata,"",@progbits
; Kernel info:
; codeLenInByte = 1584
; TotalNumSgprs: 30
; NumVgprs: 16
; NumAgprs: 0
; TotalNumVgprs: 16
; ScratchSize: 0
; MemoryBound: 0
; FloatMode: 240
; IeeeMode: 1
; LDSByteSize: 12 bytes/workgroup (compile time only)
; SGPRBlocks: 3
; VGPRBlocks: 1
; NumSGPRsForWavesPerEU: 30
; NumVGPRsForWavesPerEU: 16
; AccumOffset: 16
; Occupancy: 8
; WaveLimiterHint : 0
; COMPUTE_PGM_RSRC2:SCRATCH_EN: 0
; COMPUTE_PGM_RSRC2:USER_SGPR: 2
; COMPUTE_PGM_RSRC2:TRAP_HANDLER: 0
; COMPUTE_PGM_RSRC2:TGID_X_EN: 1
; COMPUTE_PGM_RSRC2:TGID_Y_EN: 0
; COMPUTE_PGM_RSRC2:TGID_Z_EN: 0
; COMPUTE_PGM_RSRC2:TIDIG_COMP_CNT: 0
; COMPUTE_PGM_RSRC3_GFX90A:ACCUM_OFFSET: 3
; COMPUTE_PGM_RSRC3_GFX90A:TG_SPLIT: 0
	.section	.text._ZN9rocsparseL14csr2coo_kernelILj256ELj256EiiEEvT2_PKT1_S4_PS1_21rocsparse_index_base_,"axG",@progbits,_ZN9rocsparseL14csr2coo_kernelILj256ELj256EiiEEvT2_PKT1_S4_PS1_21rocsparse_index_base_,comdat
	.globl	_ZN9rocsparseL14csr2coo_kernelILj256ELj256EiiEEvT2_PKT1_S4_PS1_21rocsparse_index_base_ ; -- Begin function _ZN9rocsparseL14csr2coo_kernelILj256ELj256EiiEEvT2_PKT1_S4_PS1_21rocsparse_index_base_
	.p2align	8
	.type	_ZN9rocsparseL14csr2coo_kernelILj256ELj256EiiEEvT2_PKT1_S4_PS1_21rocsparse_index_base_,@function
_ZN9rocsparseL14csr2coo_kernelILj256ELj256EiiEEvT2_PKT1_S4_PS1_21rocsparse_index_base_: ; @_ZN9rocsparseL14csr2coo_kernelILj256ELj256EiiEEvT2_PKT1_S4_PS1_21rocsparse_index_base_
; %bb.0:
	s_load_dword s23, s[0:1], 0x0
	s_load_dwordx4 s[4:7], s[0:1], 0x8
	s_load_dwordx2 s[8:9], s[0:1], 0x18
	s_load_dword s22, s[0:1], 0x20
	v_mov_b32_e32 v1, 0
	s_waitcnt lgkmcnt(0)
	s_cmp_lt_i32 s2, s23
	v_mov_b32_e32 v2, 1
	v_mov_b32_e32 v4, s2
	s_cselect_b64 s[0:1], -1, 0
	v_ashrrev_i32_e64 v5, 31, s2
	v_mov_b32_e32 v3, 0
	ds_write_b32 v1, v2 offset:4
	s_waitcnt lgkmcnt(0)
	s_barrier
	s_and_saveexec_b64 s[10:11], s[0:1]
	s_cbranch_execz .LBB7_2
; %bb.1:
	v_lshl_add_u64 v[2:3], v[4:5], 2, s[4:5]
	global_load_dword v2, v[2:3], off
	s_waitcnt vmcnt(0)
	v_subrev_u32_e32 v3, s22, v2
.LBB7_2:
	s_or_b64 exec, exec, s[10:11]
	s_and_saveexec_b64 s[10:11], s[0:1]
	s_cbranch_execz .LBB7_4
; %bb.3:
	v_lshl_add_u64 v[6:7], v[4:5], 2, s[6:7]
	global_load_dword v1, v[6:7], off
	s_waitcnt vmcnt(0)
	v_subrev_u32_e32 v1, s22, v1
.LBB7_4:
	s_or_b64 exec, exec, s[10:11]
	v_sub_u32_e32 v2, v1, v3
	s_movk_i32 s0, 0x801
	v_cmp_gt_u32_e32 vcc, s0, v2
	s_movk_i32 s0, 0x800
	v_cmp_lt_u32_e64 s[0:1], s0, v2
	s_and_saveexec_b64 s[10:11], s[0:1]
	s_xor_b64 s[0:1], exec, s[10:11]
; %bb.5:
	v_mov_b32_e32 v1, 0
	ds_write_b32 v1, v1 offset:4
                                        ; implicit-def: $vgpr3
                                        ; implicit-def: $vgpr1
                                        ; implicit-def: $vgpr4
; %bb.6:
	s_andn2_saveexec_b64 s[10:11], s[0:1]
	s_cbranch_execz .LBB7_18
; %bb.7:
	v_add_u32_e32 v2, v3, v0
	v_cmp_lt_i32_e64 s[0:1], v2, v1
	s_and_saveexec_b64 s[12:13], s[0:1]
	s_cbranch_execz .LBB7_17
; %bb.8:
	v_add_u32_e32 v6, s22, v4
	v_add_u32_e32 v4, 0x100, v2
	v_max_i32_e32 v4, v1, v4
	v_xad_u32 v3, v3, -1, v4
	v_sub_u32_e32 v3, v3, v0
	s_movk_i32 s0, 0x1b00
	v_cmp_gt_u32_e64 s[14:15], s0, v3
	s_movk_i32 s0, 0x1aff
	v_cmp_lt_u32_e64 s[0:1], s0, v3
	s_and_saveexec_b64 s[16:17], s[0:1]
	s_cbranch_execz .LBB7_14
; %bb.9:
	v_and_b32_e32 v4, 0xffffff00, v3
	v_add_u32_e32 v4, v2, v4
	v_cmp_ge_i32_e64 s[0:1], v4, v2
	s_mov_b64 s[20:21], -1
	s_and_saveexec_b64 s[18:19], s[0:1]
	s_cbranch_execz .LBB7_13
; %bb.10:
	v_lshrrev_b32_e32 v3, 8, v3
	v_add_u32_e32 v7, 1, v3
	v_and_b32_e32 v8, 0x1fffffe, v7
	v_add_u32_e32 v3, 0x100, v2
	s_mov_b64 s[20:21], 0
	v_mov_b32_e32 v9, v8
	v_mov_b64_e32 v[4:5], v[2:3]
.LBB7_11:                               ; =>This Inner Loop Header: Depth=1
	v_add_u32_e32 v9, -2, v9
	v_ashrrev_i32_e32 v11, 31, v5
	v_mov_b32_e32 v10, v5
	v_ashrrev_i32_e32 v13, 31, v4
	v_mov_b32_e32 v12, v4
	v_cmp_eq_u32_e64 s[0:1], 0, v9
	v_add_u32_e32 v5, 0x200, v5
	v_add_u32_e32 v4, 0x200, v4
	v_lshl_add_u64 v[12:13], v[12:13], 2, s[8:9]
	v_lshl_add_u64 v[10:11], v[10:11], 2, s[8:9]
	s_or_b64 s[20:21], s[0:1], s[20:21]
	global_store_dword v[12:13], v6, off
	global_store_dword v[10:11], v6, off
	s_andn2_b64 exec, exec, s[20:21]
	s_cbranch_execnz .LBB7_11
; %bb.12:
	s_or_b64 exec, exec, s[20:21]
	v_cmp_ne_u32_e64 s[0:1], v7, v8
	v_lshl_add_u32 v2, v8, 8, v2
	s_orn2_b64 s[20:21], s[0:1], exec
.LBB7_13:
	s_or_b64 exec, exec, s[18:19]
	s_andn2_b64 s[0:1], s[14:15], exec
	s_and_b64 s[14:15], s[20:21], exec
	s_or_b64 s[14:15], s[0:1], s[14:15]
.LBB7_14:
	s_or_b64 exec, exec, s[16:17]
	s_and_b64 exec, exec, s[14:15]
	s_cbranch_execz .LBB7_17
; %bb.15:
	s_mov_b64 s[14:15], 0
.LBB7_16:                               ; =>This Inner Loop Header: Depth=1
	v_ashrrev_i32_e32 v3, 31, v2
	v_lshl_add_u64 v[4:5], v[2:3], 2, s[8:9]
	v_add_u32_e32 v2, 0x100, v2
	v_cmp_ge_i32_e64 s[0:1], v2, v1
	s_or_b64 s[14:15], s[0:1], s[14:15]
	global_store_dword v[4:5], v6, off
	s_andn2_b64 exec, exec, s[14:15]
	s_cbranch_execnz .LBB7_16
.LBB7_17:
	s_or_b64 exec, exec, s[12:13]
.LBB7_18:
	s_or_b64 exec, exec, s[10:11]
	v_cndmask_b32_e64 v2, 0, 1, vcc
	v_mov_b32_e32 v1, 0
	ds_write_b32 v1, v2
	s_waitcnt lgkmcnt(0)
	s_barrier
	ds_read_b32 v2, v1 offset:4
	s_waitcnt lgkmcnt(0)
	v_cmp_ne_u32_e32 vcc, 0, v2
	s_cbranch_vccnz .LBB7_34
; %bb.19:
	ds_read_b32 v1, v1
	s_waitcnt lgkmcnt(0)
	v_cmp_ne_u32_e32 vcc, 0, v1
	s_cbranch_vccnz .LBB7_34
; %bb.20:
	s_cmp_lt_i32 s2, s23
	s_cselect_b64 s[0:1], -1, 0
	s_ashr_i32 s3, s2, 31
	s_cmp_ge_i32 s2, s23
	v_mov_b32_e32 v4, 0
	v_mov_b32_e32 v1, 0
	s_cbranch_scc0 .LBB7_23
; %bb.21:
	s_andn2_b64 vcc, exec, s[0:1]
	s_cbranch_vccz .LBB7_24
.LBB7_22:
	v_add_u32_e32 v2, v1, v0
	v_cmp_lt_i32_e32 vcc, v2, v4
	s_and_saveexec_b64 s[0:1], vcc
	s_cbranch_execnz .LBB7_25
	s_branch .LBB7_34
.LBB7_23:
	s_lshl_b64 s[10:11], s[2:3], 2
	s_add_u32 s4, s4, s10
	s_addc_u32 s5, s5, s11
	v_mov_b32_e32 v1, 0
	global_load_dword v1, v1, s[4:5]
	s_waitcnt vmcnt(0)
	v_subrev_u32_e32 v1, s22, v1
	s_andn2_b64 vcc, exec, s[0:1]
	s_cbranch_vccnz .LBB7_22
.LBB7_24:
	s_lshl_b64 s[0:1], s[2:3], 2
	s_add_u32 s0, s6, s0
	s_addc_u32 s1, s7, s1
	v_mov_b32_e32 v2, 0
	global_load_dword v2, v2, s[0:1]
	s_waitcnt vmcnt(0)
	v_subrev_u32_e32 v4, s22, v2
	v_add_u32_e32 v2, v1, v0
	v_cmp_lt_i32_e32 vcc, v2, v4
	s_and_saveexec_b64 s[0:1], vcc
	s_cbranch_execz .LBB7_34
.LBB7_25:
	v_add_u32_e32 v3, 0x100, v2
	v_max_i32_e32 v3, v4, v3
	v_xad_u32 v0, v0, -1, v3
	s_add_i32 s10, s22, s2
	v_sub_u32_e32 v0, v0, v1
	s_movk_i32 s0, 0x1b00
	s_movk_i32 s2, 0x1aff
	v_cmp_gt_u32_e64 s[0:1], s0, v0
	v_cmp_lt_u32_e32 vcc, s2, v0
	s_and_saveexec_b64 s[2:3], vcc
	s_cbranch_execz .LBB7_31
; %bb.26:
	v_and_b32_e32 v1, 0xffffff00, v0
	v_add_u32_e32 v1, v2, v1
	v_cmp_ge_i32_e32 vcc, v1, v2
	s_mov_b64 s[6:7], -1
	s_and_saveexec_b64 s[4:5], vcc
	s_cbranch_execz .LBB7_30
; %bb.27:
	v_lshrrev_b32_e32 v0, 8, v0
	v_add_u32_e32 v5, 1, v0
	v_and_b32_e32 v6, 0x1fffffe, v5
	v_add_u32_e32 v3, 0x100, v2
	s_mov_b64 s[6:7], 0
	v_mov_b32_e32 v8, s10
	v_mov_b32_e32 v7, v6
	v_mov_b64_e32 v[0:1], v[2:3]
.LBB7_28:                               ; =>This Inner Loop Header: Depth=1
	v_add_u32_e32 v7, -2, v7
	v_ashrrev_i32_e32 v11, 31, v1
	v_mov_b32_e32 v10, v1
	v_ashrrev_i32_e32 v13, 31, v0
	v_mov_b32_e32 v12, v0
	v_cmp_eq_u32_e32 vcc, 0, v7
	v_add_u32_e32 v1, 0x200, v1
	v_add_u32_e32 v0, 0x200, v0
	v_lshl_add_u64 v[12:13], v[12:13], 2, s[8:9]
	v_lshl_add_u64 v[10:11], v[10:11], 2, s[8:9]
	s_or_b64 s[6:7], vcc, s[6:7]
	global_store_dword v[12:13], v8, off
	global_store_dword v[10:11], v8, off
	s_andn2_b64 exec, exec, s[6:7]
	s_cbranch_execnz .LBB7_28
; %bb.29:
	s_or_b64 exec, exec, s[6:7]
	v_cmp_ne_u32_e32 vcc, v5, v6
	v_lshl_add_u32 v2, v6, 8, v2
	s_orn2_b64 s[6:7], vcc, exec
.LBB7_30:
	s_or_b64 exec, exec, s[4:5]
	s_andn2_b64 s[0:1], s[0:1], exec
	s_and_b64 s[4:5], s[6:7], exec
	s_or_b64 s[0:1], s[0:1], s[4:5]
.LBB7_31:
	s_or_b64 exec, exec, s[2:3]
	s_and_b64 exec, exec, s[0:1]
	s_cbranch_execz .LBB7_34
; %bb.32:
	s_mov_b64 s[0:1], 0
	v_mov_b32_e32 v0, s10
.LBB7_33:                               ; =>This Inner Loop Header: Depth=1
	v_ashrrev_i32_e32 v3, 31, v2
	v_lshl_add_u64 v[6:7], v[2:3], 2, s[8:9]
	v_add_u32_e32 v2, 0x100, v2
	v_cmp_ge_i32_e32 vcc, v2, v4
	s_or_b64 s[0:1], vcc, s[0:1]
	global_store_dword v[6:7], v0, off
	s_andn2_b64 exec, exec, s[0:1]
	s_cbranch_execnz .LBB7_33
.LBB7_34:
	s_endpgm
	.section	.rodata,"a",@progbits
	.p2align	6, 0x0
	.amdhsa_kernel _ZN9rocsparseL14csr2coo_kernelILj256ELj256EiiEEvT2_PKT1_S4_PS1_21rocsparse_index_base_
		.amdhsa_group_segment_fixed_size 8
		.amdhsa_private_segment_fixed_size 0
		.amdhsa_kernarg_size 36
		.amdhsa_user_sgpr_count 2
		.amdhsa_user_sgpr_dispatch_ptr 0
		.amdhsa_user_sgpr_queue_ptr 0
		.amdhsa_user_sgpr_kernarg_segment_ptr 1
		.amdhsa_user_sgpr_dispatch_id 0
		.amdhsa_user_sgpr_kernarg_preload_length 0
		.amdhsa_user_sgpr_kernarg_preload_offset 0
		.amdhsa_user_sgpr_private_segment_size 0
		.amdhsa_uses_dynamic_stack 0
		.amdhsa_enable_private_segment 0
		.amdhsa_system_sgpr_workgroup_id_x 1
		.amdhsa_system_sgpr_workgroup_id_y 0
		.amdhsa_system_sgpr_workgroup_id_z 0
		.amdhsa_system_sgpr_workgroup_info 0
		.amdhsa_system_vgpr_workitem_id 0
		.amdhsa_next_free_vgpr 14
		.amdhsa_next_free_sgpr 24
		.amdhsa_accum_offset 16
		.amdhsa_reserve_vcc 1
		.amdhsa_float_round_mode_32 0
		.amdhsa_float_round_mode_16_64 0
		.amdhsa_float_denorm_mode_32 3
		.amdhsa_float_denorm_mode_16_64 3
		.amdhsa_dx10_clamp 1
		.amdhsa_ieee_mode 1
		.amdhsa_fp16_overflow 0
		.amdhsa_tg_split 0
		.amdhsa_exception_fp_ieee_invalid_op 0
		.amdhsa_exception_fp_denorm_src 0
		.amdhsa_exception_fp_ieee_div_zero 0
		.amdhsa_exception_fp_ieee_overflow 0
		.amdhsa_exception_fp_ieee_underflow 0
		.amdhsa_exception_fp_ieee_inexact 0
		.amdhsa_exception_int_div_zero 0
	.end_amdhsa_kernel
	.section	.text._ZN9rocsparseL14csr2coo_kernelILj256ELj256EiiEEvT2_PKT1_S4_PS1_21rocsparse_index_base_,"axG",@progbits,_ZN9rocsparseL14csr2coo_kernelILj256ELj256EiiEEvT2_PKT1_S4_PS1_21rocsparse_index_base_,comdat
.Lfunc_end7:
	.size	_ZN9rocsparseL14csr2coo_kernelILj256ELj256EiiEEvT2_PKT1_S4_PS1_21rocsparse_index_base_, .Lfunc_end7-_ZN9rocsparseL14csr2coo_kernelILj256ELj256EiiEEvT2_PKT1_S4_PS1_21rocsparse_index_base_
                                        ; -- End function
	.set _ZN9rocsparseL14csr2coo_kernelILj256ELj256EiiEEvT2_PKT1_S4_PS1_21rocsparse_index_base_.num_vgpr, 14
	.set _ZN9rocsparseL14csr2coo_kernelILj256ELj256EiiEEvT2_PKT1_S4_PS1_21rocsparse_index_base_.num_agpr, 0
	.set _ZN9rocsparseL14csr2coo_kernelILj256ELj256EiiEEvT2_PKT1_S4_PS1_21rocsparse_index_base_.numbered_sgpr, 24
	.set _ZN9rocsparseL14csr2coo_kernelILj256ELj256EiiEEvT2_PKT1_S4_PS1_21rocsparse_index_base_.num_named_barrier, 0
	.set _ZN9rocsparseL14csr2coo_kernelILj256ELj256EiiEEvT2_PKT1_S4_PS1_21rocsparse_index_base_.private_seg_size, 0
	.set _ZN9rocsparseL14csr2coo_kernelILj256ELj256EiiEEvT2_PKT1_S4_PS1_21rocsparse_index_base_.uses_vcc, 1
	.set _ZN9rocsparseL14csr2coo_kernelILj256ELj256EiiEEvT2_PKT1_S4_PS1_21rocsparse_index_base_.uses_flat_scratch, 0
	.set _ZN9rocsparseL14csr2coo_kernelILj256ELj256EiiEEvT2_PKT1_S4_PS1_21rocsparse_index_base_.has_dyn_sized_stack, 0
	.set _ZN9rocsparseL14csr2coo_kernelILj256ELj256EiiEEvT2_PKT1_S4_PS1_21rocsparse_index_base_.has_recursion, 0
	.set _ZN9rocsparseL14csr2coo_kernelILj256ELj256EiiEEvT2_PKT1_S4_PS1_21rocsparse_index_base_.has_indirect_call, 0
	.section	.AMDGPU.csdata,"",@progbits
; Kernel info:
; codeLenInByte = 1080
; TotalNumSgprs: 30
; NumVgprs: 14
; NumAgprs: 0
; TotalNumVgprs: 14
; ScratchSize: 0
; MemoryBound: 0
; FloatMode: 240
; IeeeMode: 1
; LDSByteSize: 8 bytes/workgroup (compile time only)
; SGPRBlocks: 3
; VGPRBlocks: 1
; NumSGPRsForWavesPerEU: 30
; NumVGPRsForWavesPerEU: 14
; AccumOffset: 16
; Occupancy: 8
; WaveLimiterHint : 0
; COMPUTE_PGM_RSRC2:SCRATCH_EN: 0
; COMPUTE_PGM_RSRC2:USER_SGPR: 2
; COMPUTE_PGM_RSRC2:TRAP_HANDLER: 0
; COMPUTE_PGM_RSRC2:TGID_X_EN: 1
; COMPUTE_PGM_RSRC2:TGID_Y_EN: 0
; COMPUTE_PGM_RSRC2:TGID_Z_EN: 0
; COMPUTE_PGM_RSRC2:TIDIG_COMP_CNT: 0
; COMPUTE_PGM_RSRC3_GFX90A:ACCUM_OFFSET: 3
; COMPUTE_PGM_RSRC3_GFX90A:TG_SPLIT: 0
	.section	.text._ZN9rocsparseL14csr2coo_kernelILj256ELj2EliEEvT2_PKT1_S4_PS1_21rocsparse_index_base_,"axG",@progbits,_ZN9rocsparseL14csr2coo_kernelILj256ELj2EliEEvT2_PKT1_S4_PS1_21rocsparse_index_base_,comdat
	.globl	_ZN9rocsparseL14csr2coo_kernelILj256ELj2EliEEvT2_PKT1_S4_PS1_21rocsparse_index_base_ ; -- Begin function _ZN9rocsparseL14csr2coo_kernelILj256ELj2EliEEvT2_PKT1_S4_PS1_21rocsparse_index_base_
	.p2align	8
	.type	_ZN9rocsparseL14csr2coo_kernelILj256ELj2EliEEvT2_PKT1_S4_PS1_21rocsparse_index_base_,@function
_ZN9rocsparseL14csr2coo_kernelILj256ELj2EliEEvT2_PKT1_S4_PS1_21rocsparse_index_base_: ; @_ZN9rocsparseL14csr2coo_kernelILj256ELj2EliEEvT2_PKT1_S4_PS1_21rocsparse_index_base_
; %bb.0:
	s_load_dword s18, s[0:1], 0x0
	s_load_dwordx4 s[4:7], s[0:1], 0x8
	s_load_dwordx2 s[8:9], s[0:1], 0x18
	s_load_dword s19, s[0:1], 0x20
	v_lshrrev_b32_e32 v1, 1, v0
	s_lshl_b32 s20, s2, 7
	v_mov_b32_e32 v2, 1
	v_mov_b32_e32 v3, 0
	v_or_b32_e32 v4, s20, v1
	ds_write_b32 v3, v2 offset:512
	s_waitcnt lgkmcnt(0)
	v_cmp_gt_i32_e32 vcc, s18, v4
	v_mov_b64_e32 v[2:3], 0
	v_ashrrev_i32_e32 v5, 31, v4
	v_mov_b64_e32 v[6:7], 0
	s_barrier
	s_and_saveexec_b64 s[2:3], vcc
	s_cbranch_execz .LBB8_2
; %bb.1:
	v_lshl_add_u64 v[6:7], v[4:5], 3, s[4:5]
	global_load_dwordx2 v[6:7], v[6:7], off
	s_waitcnt vmcnt(0)
	v_subrev_co_u32_e64 v6, s[0:1], s19, v6
	s_nop 1
	v_subbrev_co_u32_e64 v7, s[0:1], 0, v7, s[0:1]
.LBB8_2:
	s_or_b64 exec, exec, s[2:3]
	s_and_saveexec_b64 s[0:1], vcc
	s_cbranch_execz .LBB8_4
; %bb.3:
	v_lshl_add_u64 v[2:3], v[4:5], 3, s[6:7]
	global_load_dwordx2 v[2:3], v[2:3], off
	s_waitcnt vmcnt(0)
	v_subrev_co_u32_e32 v2, vcc, s19, v2
	s_nop 1
	v_subbrev_co_u32_e32 v3, vcc, 0, v3, vcc
.LBB8_4:
	s_or_b64 exec, exec, s[0:1]
	v_sub_co_u32_e32 v8, vcc, v2, v6
	s_nop 1
	v_subb_co_u32_e32 v9, vcc, v3, v7, vcc
	v_cmp_gt_i64_e32 vcc, 17, v[8:9]
	v_cmp_lt_i64_e64 s[0:1], 16, v[8:9]
	s_and_saveexec_b64 s[2:3], s[0:1]
	s_xor_b64 s[0:1], exec, s[2:3]
; %bb.5:
	v_mov_b32_e32 v2, 0
	ds_write_b32 v2, v2 offset:512
                                        ; implicit-def: $vgpr6_vgpr7
                                        ; implicit-def: $vgpr2_vgpr3
                                        ; implicit-def: $vgpr4
; %bb.6:
	s_andn2_saveexec_b64 s[2:3], s[0:1]
	s_cbranch_execz .LBB8_11
; %bb.7:
	v_and_b32_e32 v8, 1, v0
	v_mov_b32_e32 v9, 0
	v_lshl_add_u64 v[6:7], v[6:7], 0, v[8:9]
	v_cmp_lt_i64_e64 s[0:1], v[6:7], v[2:3]
	s_and_saveexec_b64 s[10:11], s[0:1]
	s_cbranch_execz .LBB8_10
; %bb.8:
	v_add_u32_e32 v8, s19, v4
	v_lshl_add_u64 v[4:5], v[6:7], 2, s[8:9]
	s_mov_b64 s[12:13], 0
.LBB8_9:                                ; =>This Inner Loop Header: Depth=1
	v_lshl_add_u64 v[6:7], v[6:7], 0, 2
	v_cmp_ge_i64_e64 s[0:1], v[6:7], v[2:3]
	global_store_dword v[4:5], v8, off
	s_or_b64 s[12:13], s[0:1], s[12:13]
	v_lshl_add_u64 v[4:5], v[4:5], 0, 8
	s_andn2_b64 exec, exec, s[12:13]
	s_cbranch_execnz .LBB8_9
.LBB8_10:
	s_or_b64 exec, exec, s[10:11]
.LBB8_11:
	s_or_b64 exec, exec, s[2:3]
	v_cndmask_b32_e64 v2, 0, 1, vcc
	v_lshlrev_b32_e32 v1, 2, v1
	ds_write_b32 v1, v2
	v_mov_b32_e32 v1, 0
	s_waitcnt lgkmcnt(0)
	s_barrier
	ds_read_b32 v2, v1 offset:512
	s_mov_b32 s21, 0
	s_waitcnt lgkmcnt(0)
	v_cmp_ne_u32_e32 vcc, 0, v2
	s_cbranch_vccz .LBB8_13
.LBB8_12:
	s_endpgm
.LBB8_13:
	s_or_b32 s22, s20, 1
	s_ashr_i32 s23, s20, 31
	s_mov_b64 s[0:1], 0x100
	s_mov_b64 s[2:3], 0x400
	s_branch .LBB8_16
.LBB8_14:                               ;   in Loop: Header=BB8_16 Depth=1
	s_or_b64 exec, exec, s[12:13]
.LBB8_15:                               ;   in Loop: Header=BB8_16 Depth=1
	s_add_i32 s21, s21, 2
	s_cmpk_lg_i32 s21, 0x80
	s_cbranch_scc0 .LBB8_12
.LBB8_16:                               ; =>This Loop Header: Depth=1
                                        ;     Child Loop BB8_23 Depth 2
                                        ;     Child Loop BB8_32 Depth 2
	s_lshl_b32 s24, s21, 2
	v_mov_b32_e32 v2, s24
	ds_read_b32 v2, v2
	s_waitcnt lgkmcnt(0)
	v_cmp_ne_u32_e32 vcc, 0, v2
	s_cbranch_vccnz .LBB8_25
; %bb.17:                               ;   in Loop: Header=BB8_16 Depth=1
	s_or_b32 s12, s21, s20
	s_cmp_lt_i32 s12, s18
	s_mov_b64 s[10:11], 0
	s_cselect_b64 s[16:17], -1, 0
	s_cmp_ge_i32 s12, s18
	s_mov_b64 s[14:15], 0
	s_cbranch_scc0 .LBB8_20
; %bb.18:                               ;   in Loop: Header=BB8_16 Depth=1
	s_andn2_b64 vcc, exec, s[16:17]
	s_cbranch_vccz .LBB8_21
.LBB8_19:                               ;   in Loop: Header=BB8_16 Depth=1
	v_lshl_add_u64 v[2:3], s[14:15], 0, v[0:1]
	v_cmp_gt_i64_e32 vcc, s[10:11], v[2:3]
	s_and_saveexec_b64 s[14:15], vcc
	s_cbranch_execnz .LBB8_22
	s_branch .LBB8_24
.LBB8_20:                               ;   in Loop: Header=BB8_16 Depth=1
	s_ashr_i32 s13, s12, 31
	s_lshl_b64 s[14:15], s[12:13], 3
	s_add_u32 s14, s4, s14
	s_addc_u32 s15, s5, s15
	s_load_dwordx2 s[14:15], s[14:15], 0x0
	s_waitcnt lgkmcnt(0)
	s_sub_u32 s14, s14, s19
	s_subb_u32 s15, s15, 0
	s_andn2_b64 vcc, exec, s[16:17]
	s_cbranch_vccnz .LBB8_19
.LBB8_21:                               ;   in Loop: Header=BB8_16 Depth=1
	s_ashr_i32 s13, s12, 31
	s_lshl_b64 s[10:11], s[12:13], 3
	s_add_u32 s10, s6, s10
	s_addc_u32 s11, s7, s11
	s_load_dwordx2 s[10:11], s[10:11], 0x0
	s_waitcnt lgkmcnt(0)
	s_sub_u32 s10, s10, s19
	s_subb_u32 s11, s11, 0
	v_lshl_add_u64 v[2:3], s[14:15], 0, v[0:1]
	v_cmp_gt_i64_e32 vcc, s[10:11], v[2:3]
	s_and_saveexec_b64 s[14:15], vcc
	s_cbranch_execz .LBB8_24
.LBB8_22:                               ;   in Loop: Header=BB8_16 Depth=1
	s_add_i32 s16, s12, s19
	v_lshl_add_u64 v[4:5], v[2:3], 2, s[8:9]
	s_mov_b64 s[12:13], 0
	v_mov_b32_e32 v6, s16
.LBB8_23:                               ;   Parent Loop BB8_16 Depth=1
                                        ; =>  This Inner Loop Header: Depth=2
	v_lshl_add_u64 v[2:3], v[2:3], 0, s[0:1]
	v_cmp_le_i64_e32 vcc, s[10:11], v[2:3]
	global_store_dword v[4:5], v6, off
	s_or_b64 s[12:13], vcc, s[12:13]
	v_lshl_add_u64 v[4:5], v[4:5], 0, s[2:3]
	s_andn2_b64 exec, exec, s[12:13]
	s_cbranch_execnz .LBB8_23
.LBB8_24:                               ;   in Loop: Header=BB8_16 Depth=1
	s_or_b64 exec, exec, s[14:15]
.LBB8_25:                               ;   in Loop: Header=BB8_16 Depth=1
	v_mov_b32_e32 v2, s24
	ds_read_b32 v2, v2 offset:4
	s_waitcnt lgkmcnt(0)
	v_cmp_ne_u32_e32 vcc, 0, v2
	s_cbranch_vccnz .LBB8_15
; %bb.26:                               ;   in Loop: Header=BB8_16 Depth=1
	s_or_b32 s16, s21, s22
	s_cmp_lt_i32 s16, s18
	s_mov_b64 s[10:11], 0
	s_cselect_b64 s[14:15], -1, 0
	s_cmp_ge_i32 s16, s18
	s_mov_b64 s[12:13], 0
	s_cbranch_scc0 .LBB8_29
; %bb.27:                               ;   in Loop: Header=BB8_16 Depth=1
	s_andn2_b64 vcc, exec, s[14:15]
	s_cbranch_vccz .LBB8_30
.LBB8_28:                               ;   in Loop: Header=BB8_16 Depth=1
	v_lshl_add_u64 v[2:3], s[12:13], 0, v[0:1]
	v_cmp_gt_i64_e32 vcc, s[10:11], v[2:3]
	s_and_saveexec_b64 s[12:13], vcc
	s_cbranch_execz .LBB8_14
	s_branch .LBB8_31
.LBB8_29:                               ;   in Loop: Header=BB8_16 Depth=1
	s_ashr_i32 s13, s21, 31
	s_add_u32 s12, s21, s20
	s_addc_u32 s13, s13, s23
	s_lshl_b64 s[12:13], s[12:13], 3
	s_add_u32 s12, s4, s12
	s_addc_u32 s13, s5, s13
	s_load_dwordx2 s[12:13], s[12:13], 0x8
	s_waitcnt lgkmcnt(0)
	s_sub_u32 s12, s12, s19
	s_subb_u32 s13, s13, 0
	s_andn2_b64 vcc, exec, s[14:15]
	s_cbranch_vccnz .LBB8_28
.LBB8_30:                               ;   in Loop: Header=BB8_16 Depth=1
	s_ashr_i32 s11, s21, 31
	s_add_u32 s10, s21, s20
	s_addc_u32 s11, s11, s23
	s_lshl_b64 s[10:11], s[10:11], 3
	s_add_u32 s10, s6, s10
	s_addc_u32 s11, s7, s11
	s_load_dwordx2 s[10:11], s[10:11], 0x8
	s_waitcnt lgkmcnt(0)
	s_sub_u32 s10, s10, s19
	s_subb_u32 s11, s11, 0
	v_lshl_add_u64 v[2:3], s[12:13], 0, v[0:1]
	v_cmp_gt_i64_e32 vcc, s[10:11], v[2:3]
	s_and_saveexec_b64 s[12:13], vcc
	s_cbranch_execz .LBB8_14
.LBB8_31:                               ;   in Loop: Header=BB8_16 Depth=1
	s_add_i32 s16, s16, s19
	v_lshl_add_u64 v[4:5], v[2:3], 2, s[8:9]
	s_mov_b64 s[14:15], 0
	v_mov_b32_e32 v6, s16
.LBB8_32:                               ;   Parent Loop BB8_16 Depth=1
                                        ; =>  This Inner Loop Header: Depth=2
	v_lshl_add_u64 v[2:3], v[2:3], 0, s[0:1]
	v_cmp_le_i64_e32 vcc, s[10:11], v[2:3]
	global_store_dword v[4:5], v6, off
	s_or_b64 s[14:15], vcc, s[14:15]
	v_lshl_add_u64 v[4:5], v[4:5], 0, s[2:3]
	s_andn2_b64 exec, exec, s[14:15]
	s_cbranch_execnz .LBB8_32
	s_branch .LBB8_14
	.section	.rodata,"a",@progbits
	.p2align	6, 0x0
	.amdhsa_kernel _ZN9rocsparseL14csr2coo_kernelILj256ELj2EliEEvT2_PKT1_S4_PS1_21rocsparse_index_base_
		.amdhsa_group_segment_fixed_size 516
		.amdhsa_private_segment_fixed_size 0
		.amdhsa_kernarg_size 36
		.amdhsa_user_sgpr_count 2
		.amdhsa_user_sgpr_dispatch_ptr 0
		.amdhsa_user_sgpr_queue_ptr 0
		.amdhsa_user_sgpr_kernarg_segment_ptr 1
		.amdhsa_user_sgpr_dispatch_id 0
		.amdhsa_user_sgpr_kernarg_preload_length 0
		.amdhsa_user_sgpr_kernarg_preload_offset 0
		.amdhsa_user_sgpr_private_segment_size 0
		.amdhsa_uses_dynamic_stack 0
		.amdhsa_enable_private_segment 0
		.amdhsa_system_sgpr_workgroup_id_x 1
		.amdhsa_system_sgpr_workgroup_id_y 0
		.amdhsa_system_sgpr_workgroup_id_z 0
		.amdhsa_system_sgpr_workgroup_info 0
		.amdhsa_system_vgpr_workitem_id 0
		.amdhsa_next_free_vgpr 10
		.amdhsa_next_free_sgpr 25
		.amdhsa_accum_offset 12
		.amdhsa_reserve_vcc 1
		.amdhsa_float_round_mode_32 0
		.amdhsa_float_round_mode_16_64 0
		.amdhsa_float_denorm_mode_32 3
		.amdhsa_float_denorm_mode_16_64 3
		.amdhsa_dx10_clamp 1
		.amdhsa_ieee_mode 1
		.amdhsa_fp16_overflow 0
		.amdhsa_tg_split 0
		.amdhsa_exception_fp_ieee_invalid_op 0
		.amdhsa_exception_fp_denorm_src 0
		.amdhsa_exception_fp_ieee_div_zero 0
		.amdhsa_exception_fp_ieee_overflow 0
		.amdhsa_exception_fp_ieee_underflow 0
		.amdhsa_exception_fp_ieee_inexact 0
		.amdhsa_exception_int_div_zero 0
	.end_amdhsa_kernel
	.section	.text._ZN9rocsparseL14csr2coo_kernelILj256ELj2EliEEvT2_PKT1_S4_PS1_21rocsparse_index_base_,"axG",@progbits,_ZN9rocsparseL14csr2coo_kernelILj256ELj2EliEEvT2_PKT1_S4_PS1_21rocsparse_index_base_,comdat
.Lfunc_end8:
	.size	_ZN9rocsparseL14csr2coo_kernelILj256ELj2EliEEvT2_PKT1_S4_PS1_21rocsparse_index_base_, .Lfunc_end8-_ZN9rocsparseL14csr2coo_kernelILj256ELj2EliEEvT2_PKT1_S4_PS1_21rocsparse_index_base_
                                        ; -- End function
	.set _ZN9rocsparseL14csr2coo_kernelILj256ELj2EliEEvT2_PKT1_S4_PS1_21rocsparse_index_base_.num_vgpr, 10
	.set _ZN9rocsparseL14csr2coo_kernelILj256ELj2EliEEvT2_PKT1_S4_PS1_21rocsparse_index_base_.num_agpr, 0
	.set _ZN9rocsparseL14csr2coo_kernelILj256ELj2EliEEvT2_PKT1_S4_PS1_21rocsparse_index_base_.numbered_sgpr, 25
	.set _ZN9rocsparseL14csr2coo_kernelILj256ELj2EliEEvT2_PKT1_S4_PS1_21rocsparse_index_base_.num_named_barrier, 0
	.set _ZN9rocsparseL14csr2coo_kernelILj256ELj2EliEEvT2_PKT1_S4_PS1_21rocsparse_index_base_.private_seg_size, 0
	.set _ZN9rocsparseL14csr2coo_kernelILj256ELj2EliEEvT2_PKT1_S4_PS1_21rocsparse_index_base_.uses_vcc, 1
	.set _ZN9rocsparseL14csr2coo_kernelILj256ELj2EliEEvT2_PKT1_S4_PS1_21rocsparse_index_base_.uses_flat_scratch, 0
	.set _ZN9rocsparseL14csr2coo_kernelILj256ELj2EliEEvT2_PKT1_S4_PS1_21rocsparse_index_base_.has_dyn_sized_stack, 0
	.set _ZN9rocsparseL14csr2coo_kernelILj256ELj2EliEEvT2_PKT1_S4_PS1_21rocsparse_index_base_.has_recursion, 0
	.set _ZN9rocsparseL14csr2coo_kernelILj256ELj2EliEEvT2_PKT1_S4_PS1_21rocsparse_index_base_.has_indirect_call, 0
	.section	.AMDGPU.csdata,"",@progbits
; Kernel info:
; codeLenInByte = 952
; TotalNumSgprs: 31
; NumVgprs: 10
; NumAgprs: 0
; TotalNumVgprs: 10
; ScratchSize: 0
; MemoryBound: 0
; FloatMode: 240
; IeeeMode: 1
; LDSByteSize: 516 bytes/workgroup (compile time only)
; SGPRBlocks: 3
; VGPRBlocks: 1
; NumSGPRsForWavesPerEU: 31
; NumVGPRsForWavesPerEU: 10
; AccumOffset: 12
; Occupancy: 8
; WaveLimiterHint : 0
; COMPUTE_PGM_RSRC2:SCRATCH_EN: 0
; COMPUTE_PGM_RSRC2:USER_SGPR: 2
; COMPUTE_PGM_RSRC2:TRAP_HANDLER: 0
; COMPUTE_PGM_RSRC2:TGID_X_EN: 1
; COMPUTE_PGM_RSRC2:TGID_Y_EN: 0
; COMPUTE_PGM_RSRC2:TGID_Z_EN: 0
; COMPUTE_PGM_RSRC2:TIDIG_COMP_CNT: 0
; COMPUTE_PGM_RSRC3_GFX90A:ACCUM_OFFSET: 2
; COMPUTE_PGM_RSRC3_GFX90A:TG_SPLIT: 0
	.section	.text._ZN9rocsparseL14csr2coo_kernelILj256ELj4EliEEvT2_PKT1_S4_PS1_21rocsparse_index_base_,"axG",@progbits,_ZN9rocsparseL14csr2coo_kernelILj256ELj4EliEEvT2_PKT1_S4_PS1_21rocsparse_index_base_,comdat
	.globl	_ZN9rocsparseL14csr2coo_kernelILj256ELj4EliEEvT2_PKT1_S4_PS1_21rocsparse_index_base_ ; -- Begin function _ZN9rocsparseL14csr2coo_kernelILj256ELj4EliEEvT2_PKT1_S4_PS1_21rocsparse_index_base_
	.p2align	8
	.type	_ZN9rocsparseL14csr2coo_kernelILj256ELj4EliEEvT2_PKT1_S4_PS1_21rocsparse_index_base_,@function
_ZN9rocsparseL14csr2coo_kernelILj256ELj4EliEEvT2_PKT1_S4_PS1_21rocsparse_index_base_: ; @_ZN9rocsparseL14csr2coo_kernelILj256ELj4EliEEvT2_PKT1_S4_PS1_21rocsparse_index_base_
; %bb.0:
	s_load_dword s18, s[0:1], 0x0
	s_load_dwordx4 s[4:7], s[0:1], 0x8
	s_load_dwordx2 s[8:9], s[0:1], 0x18
	s_load_dword s19, s[0:1], 0x20
	v_lshrrev_b32_e32 v1, 2, v0
	s_lshl_b32 s20, s2, 6
	v_mov_b32_e32 v2, 1
	v_mov_b32_e32 v3, 0
	v_or_b32_e32 v4, s20, v1
	ds_write_b32 v3, v2 offset:256
	s_waitcnt lgkmcnt(0)
	v_cmp_gt_i32_e32 vcc, s18, v4
	v_mov_b64_e32 v[2:3], 0
	v_ashrrev_i32_e32 v5, 31, v4
	v_mov_b64_e32 v[6:7], 0
	s_barrier
	s_and_saveexec_b64 s[2:3], vcc
	s_cbranch_execz .LBB9_2
; %bb.1:
	v_lshl_add_u64 v[6:7], v[4:5], 3, s[4:5]
	global_load_dwordx2 v[6:7], v[6:7], off
	s_waitcnt vmcnt(0)
	v_subrev_co_u32_e64 v6, s[0:1], s19, v6
	s_nop 1
	v_subbrev_co_u32_e64 v7, s[0:1], 0, v7, s[0:1]
.LBB9_2:
	s_or_b64 exec, exec, s[2:3]
	s_and_saveexec_b64 s[0:1], vcc
	s_cbranch_execz .LBB9_4
; %bb.3:
	v_lshl_add_u64 v[2:3], v[4:5], 3, s[6:7]
	global_load_dwordx2 v[2:3], v[2:3], off
	s_waitcnt vmcnt(0)
	v_subrev_co_u32_e32 v2, vcc, s19, v2
	s_nop 1
	v_subbrev_co_u32_e32 v3, vcc, 0, v3, vcc
.LBB9_4:
	s_or_b64 exec, exec, s[0:1]
	v_sub_co_u32_e32 v8, vcc, v2, v6
	s_nop 1
	v_subb_co_u32_e32 v9, vcc, v3, v7, vcc
	v_cmp_gt_i64_e32 vcc, 33, v[8:9]
	v_cmp_lt_i64_e64 s[0:1], 32, v[8:9]
	s_and_saveexec_b64 s[2:3], s[0:1]
	s_xor_b64 s[0:1], exec, s[2:3]
; %bb.5:
	v_mov_b32_e32 v2, 0
	ds_write_b32 v2, v2 offset:256
                                        ; implicit-def: $vgpr6_vgpr7
                                        ; implicit-def: $vgpr2_vgpr3
                                        ; implicit-def: $vgpr4
; %bb.6:
	s_andn2_saveexec_b64 s[2:3], s[0:1]
	s_cbranch_execz .LBB9_11
; %bb.7:
	v_and_b32_e32 v8, 3, v0
	v_mov_b32_e32 v9, 0
	v_lshl_add_u64 v[6:7], v[6:7], 0, v[8:9]
	v_cmp_lt_i64_e64 s[0:1], v[6:7], v[2:3]
	s_and_saveexec_b64 s[10:11], s[0:1]
	s_cbranch_execz .LBB9_10
; %bb.8:
	v_add_u32_e32 v8, s19, v4
	v_lshl_add_u64 v[4:5], v[6:7], 2, s[8:9]
	s_mov_b64 s[12:13], 0
.LBB9_9:                                ; =>This Inner Loop Header: Depth=1
	v_lshl_add_u64 v[6:7], v[6:7], 0, 4
	v_cmp_ge_i64_e64 s[0:1], v[6:7], v[2:3]
	global_store_dword v[4:5], v8, off
	s_or_b64 s[12:13], s[0:1], s[12:13]
	v_lshl_add_u64 v[4:5], v[4:5], 0, 16
	s_andn2_b64 exec, exec, s[12:13]
	s_cbranch_execnz .LBB9_9
.LBB9_10:
	s_or_b64 exec, exec, s[10:11]
.LBB9_11:
	s_or_b64 exec, exec, s[2:3]
	v_cndmask_b32_e64 v2, 0, 1, vcc
	v_lshlrev_b32_e32 v1, 2, v1
	ds_write_b32 v1, v2
	v_mov_b32_e32 v1, 0
	s_waitcnt lgkmcnt(0)
	s_barrier
	ds_read_b32 v2, v1 offset:256
	s_mov_b32 s21, 0
	s_waitcnt lgkmcnt(0)
	v_cmp_ne_u32_e32 vcc, 0, v2
	s_cbranch_vccz .LBB9_13
.LBB9_12:
	s_endpgm
.LBB9_13:
	s_or_b32 s22, s20, 1
	s_ashr_i32 s23, s20, 31
	s_mov_b64 s[0:1], 0x100
	s_mov_b64 s[2:3], 0x400
	s_branch .LBB9_16
.LBB9_14:                               ;   in Loop: Header=BB9_16 Depth=1
	s_or_b64 exec, exec, s[12:13]
.LBB9_15:                               ;   in Loop: Header=BB9_16 Depth=1
	s_add_i32 s21, s21, 2
	s_cmp_lg_u32 s21, 64
	s_cbranch_scc0 .LBB9_12
.LBB9_16:                               ; =>This Loop Header: Depth=1
                                        ;     Child Loop BB9_23 Depth 2
                                        ;     Child Loop BB9_32 Depth 2
	s_lshl_b32 s24, s21, 2
	v_mov_b32_e32 v2, s24
	ds_read_b32 v2, v2
	s_waitcnt lgkmcnt(0)
	v_cmp_ne_u32_e32 vcc, 0, v2
	s_cbranch_vccnz .LBB9_25
; %bb.17:                               ;   in Loop: Header=BB9_16 Depth=1
	s_or_b32 s12, s21, s20
	s_cmp_lt_i32 s12, s18
	s_mov_b64 s[10:11], 0
	s_cselect_b64 s[16:17], -1, 0
	s_cmp_ge_i32 s12, s18
	s_mov_b64 s[14:15], 0
	s_cbranch_scc0 .LBB9_20
; %bb.18:                               ;   in Loop: Header=BB9_16 Depth=1
	s_andn2_b64 vcc, exec, s[16:17]
	s_cbranch_vccz .LBB9_21
.LBB9_19:                               ;   in Loop: Header=BB9_16 Depth=1
	v_lshl_add_u64 v[2:3], s[14:15], 0, v[0:1]
	v_cmp_gt_i64_e32 vcc, s[10:11], v[2:3]
	s_and_saveexec_b64 s[14:15], vcc
	s_cbranch_execnz .LBB9_22
	s_branch .LBB9_24
.LBB9_20:                               ;   in Loop: Header=BB9_16 Depth=1
	s_ashr_i32 s13, s12, 31
	s_lshl_b64 s[14:15], s[12:13], 3
	s_add_u32 s14, s4, s14
	s_addc_u32 s15, s5, s15
	s_load_dwordx2 s[14:15], s[14:15], 0x0
	s_waitcnt lgkmcnt(0)
	s_sub_u32 s14, s14, s19
	s_subb_u32 s15, s15, 0
	s_andn2_b64 vcc, exec, s[16:17]
	s_cbranch_vccnz .LBB9_19
.LBB9_21:                               ;   in Loop: Header=BB9_16 Depth=1
	s_ashr_i32 s13, s12, 31
	s_lshl_b64 s[10:11], s[12:13], 3
	s_add_u32 s10, s6, s10
	s_addc_u32 s11, s7, s11
	s_load_dwordx2 s[10:11], s[10:11], 0x0
	s_waitcnt lgkmcnt(0)
	s_sub_u32 s10, s10, s19
	s_subb_u32 s11, s11, 0
	v_lshl_add_u64 v[2:3], s[14:15], 0, v[0:1]
	v_cmp_gt_i64_e32 vcc, s[10:11], v[2:3]
	s_and_saveexec_b64 s[14:15], vcc
	s_cbranch_execz .LBB9_24
.LBB9_22:                               ;   in Loop: Header=BB9_16 Depth=1
	s_add_i32 s16, s12, s19
	v_lshl_add_u64 v[4:5], v[2:3], 2, s[8:9]
	s_mov_b64 s[12:13], 0
	v_mov_b32_e32 v6, s16
.LBB9_23:                               ;   Parent Loop BB9_16 Depth=1
                                        ; =>  This Inner Loop Header: Depth=2
	v_lshl_add_u64 v[2:3], v[2:3], 0, s[0:1]
	v_cmp_le_i64_e32 vcc, s[10:11], v[2:3]
	global_store_dword v[4:5], v6, off
	s_or_b64 s[12:13], vcc, s[12:13]
	v_lshl_add_u64 v[4:5], v[4:5], 0, s[2:3]
	s_andn2_b64 exec, exec, s[12:13]
	s_cbranch_execnz .LBB9_23
.LBB9_24:                               ;   in Loop: Header=BB9_16 Depth=1
	s_or_b64 exec, exec, s[14:15]
.LBB9_25:                               ;   in Loop: Header=BB9_16 Depth=1
	v_mov_b32_e32 v2, s24
	ds_read_b32 v2, v2 offset:4
	s_waitcnt lgkmcnt(0)
	v_cmp_ne_u32_e32 vcc, 0, v2
	s_cbranch_vccnz .LBB9_15
; %bb.26:                               ;   in Loop: Header=BB9_16 Depth=1
	s_or_b32 s16, s21, s22
	s_cmp_lt_i32 s16, s18
	s_mov_b64 s[10:11], 0
	s_cselect_b64 s[14:15], -1, 0
	s_cmp_ge_i32 s16, s18
	s_mov_b64 s[12:13], 0
	s_cbranch_scc0 .LBB9_29
; %bb.27:                               ;   in Loop: Header=BB9_16 Depth=1
	s_andn2_b64 vcc, exec, s[14:15]
	s_cbranch_vccz .LBB9_30
.LBB9_28:                               ;   in Loop: Header=BB9_16 Depth=1
	v_lshl_add_u64 v[2:3], s[12:13], 0, v[0:1]
	v_cmp_gt_i64_e32 vcc, s[10:11], v[2:3]
	s_and_saveexec_b64 s[12:13], vcc
	s_cbranch_execz .LBB9_14
	s_branch .LBB9_31
.LBB9_29:                               ;   in Loop: Header=BB9_16 Depth=1
	s_ashr_i32 s13, s21, 31
	s_add_u32 s12, s21, s20
	s_addc_u32 s13, s13, s23
	s_lshl_b64 s[12:13], s[12:13], 3
	s_add_u32 s12, s4, s12
	s_addc_u32 s13, s5, s13
	s_load_dwordx2 s[12:13], s[12:13], 0x8
	s_waitcnt lgkmcnt(0)
	s_sub_u32 s12, s12, s19
	s_subb_u32 s13, s13, 0
	s_andn2_b64 vcc, exec, s[14:15]
	s_cbranch_vccnz .LBB9_28
.LBB9_30:                               ;   in Loop: Header=BB9_16 Depth=1
	s_ashr_i32 s11, s21, 31
	s_add_u32 s10, s21, s20
	s_addc_u32 s11, s11, s23
	s_lshl_b64 s[10:11], s[10:11], 3
	s_add_u32 s10, s6, s10
	s_addc_u32 s11, s7, s11
	s_load_dwordx2 s[10:11], s[10:11], 0x8
	s_waitcnt lgkmcnt(0)
	s_sub_u32 s10, s10, s19
	s_subb_u32 s11, s11, 0
	v_lshl_add_u64 v[2:3], s[12:13], 0, v[0:1]
	v_cmp_gt_i64_e32 vcc, s[10:11], v[2:3]
	s_and_saveexec_b64 s[12:13], vcc
	s_cbranch_execz .LBB9_14
.LBB9_31:                               ;   in Loop: Header=BB9_16 Depth=1
	s_add_i32 s16, s16, s19
	v_lshl_add_u64 v[4:5], v[2:3], 2, s[8:9]
	s_mov_b64 s[14:15], 0
	v_mov_b32_e32 v6, s16
.LBB9_32:                               ;   Parent Loop BB9_16 Depth=1
                                        ; =>  This Inner Loop Header: Depth=2
	v_lshl_add_u64 v[2:3], v[2:3], 0, s[0:1]
	v_cmp_le_i64_e32 vcc, s[10:11], v[2:3]
	global_store_dword v[4:5], v6, off
	s_or_b64 s[14:15], vcc, s[14:15]
	v_lshl_add_u64 v[4:5], v[4:5], 0, s[2:3]
	s_andn2_b64 exec, exec, s[14:15]
	s_cbranch_execnz .LBB9_32
	s_branch .LBB9_14
	.section	.rodata,"a",@progbits
	.p2align	6, 0x0
	.amdhsa_kernel _ZN9rocsparseL14csr2coo_kernelILj256ELj4EliEEvT2_PKT1_S4_PS1_21rocsparse_index_base_
		.amdhsa_group_segment_fixed_size 260
		.amdhsa_private_segment_fixed_size 0
		.amdhsa_kernarg_size 36
		.amdhsa_user_sgpr_count 2
		.amdhsa_user_sgpr_dispatch_ptr 0
		.amdhsa_user_sgpr_queue_ptr 0
		.amdhsa_user_sgpr_kernarg_segment_ptr 1
		.amdhsa_user_sgpr_dispatch_id 0
		.amdhsa_user_sgpr_kernarg_preload_length 0
		.amdhsa_user_sgpr_kernarg_preload_offset 0
		.amdhsa_user_sgpr_private_segment_size 0
		.amdhsa_uses_dynamic_stack 0
		.amdhsa_enable_private_segment 0
		.amdhsa_system_sgpr_workgroup_id_x 1
		.amdhsa_system_sgpr_workgroup_id_y 0
		.amdhsa_system_sgpr_workgroup_id_z 0
		.amdhsa_system_sgpr_workgroup_info 0
		.amdhsa_system_vgpr_workitem_id 0
		.amdhsa_next_free_vgpr 10
		.amdhsa_next_free_sgpr 25
		.amdhsa_accum_offset 12
		.amdhsa_reserve_vcc 1
		.amdhsa_float_round_mode_32 0
		.amdhsa_float_round_mode_16_64 0
		.amdhsa_float_denorm_mode_32 3
		.amdhsa_float_denorm_mode_16_64 3
		.amdhsa_dx10_clamp 1
		.amdhsa_ieee_mode 1
		.amdhsa_fp16_overflow 0
		.amdhsa_tg_split 0
		.amdhsa_exception_fp_ieee_invalid_op 0
		.amdhsa_exception_fp_denorm_src 0
		.amdhsa_exception_fp_ieee_div_zero 0
		.amdhsa_exception_fp_ieee_overflow 0
		.amdhsa_exception_fp_ieee_underflow 0
		.amdhsa_exception_fp_ieee_inexact 0
		.amdhsa_exception_int_div_zero 0
	.end_amdhsa_kernel
	.section	.text._ZN9rocsparseL14csr2coo_kernelILj256ELj4EliEEvT2_PKT1_S4_PS1_21rocsparse_index_base_,"axG",@progbits,_ZN9rocsparseL14csr2coo_kernelILj256ELj4EliEEvT2_PKT1_S4_PS1_21rocsparse_index_base_,comdat
.Lfunc_end9:
	.size	_ZN9rocsparseL14csr2coo_kernelILj256ELj4EliEEvT2_PKT1_S4_PS1_21rocsparse_index_base_, .Lfunc_end9-_ZN9rocsparseL14csr2coo_kernelILj256ELj4EliEEvT2_PKT1_S4_PS1_21rocsparse_index_base_
                                        ; -- End function
	.set _ZN9rocsparseL14csr2coo_kernelILj256ELj4EliEEvT2_PKT1_S4_PS1_21rocsparse_index_base_.num_vgpr, 10
	.set _ZN9rocsparseL14csr2coo_kernelILj256ELj4EliEEvT2_PKT1_S4_PS1_21rocsparse_index_base_.num_agpr, 0
	.set _ZN9rocsparseL14csr2coo_kernelILj256ELj4EliEEvT2_PKT1_S4_PS1_21rocsparse_index_base_.numbered_sgpr, 25
	.set _ZN9rocsparseL14csr2coo_kernelILj256ELj4EliEEvT2_PKT1_S4_PS1_21rocsparse_index_base_.num_named_barrier, 0
	.set _ZN9rocsparseL14csr2coo_kernelILj256ELj4EliEEvT2_PKT1_S4_PS1_21rocsparse_index_base_.private_seg_size, 0
	.set _ZN9rocsparseL14csr2coo_kernelILj256ELj4EliEEvT2_PKT1_S4_PS1_21rocsparse_index_base_.uses_vcc, 1
	.set _ZN9rocsparseL14csr2coo_kernelILj256ELj4EliEEvT2_PKT1_S4_PS1_21rocsparse_index_base_.uses_flat_scratch, 0
	.set _ZN9rocsparseL14csr2coo_kernelILj256ELj4EliEEvT2_PKT1_S4_PS1_21rocsparse_index_base_.has_dyn_sized_stack, 0
	.set _ZN9rocsparseL14csr2coo_kernelILj256ELj4EliEEvT2_PKT1_S4_PS1_21rocsparse_index_base_.has_recursion, 0
	.set _ZN9rocsparseL14csr2coo_kernelILj256ELj4EliEEvT2_PKT1_S4_PS1_21rocsparse_index_base_.has_indirect_call, 0
	.section	.AMDGPU.csdata,"",@progbits
; Kernel info:
; codeLenInByte = 952
; TotalNumSgprs: 31
; NumVgprs: 10
; NumAgprs: 0
; TotalNumVgprs: 10
; ScratchSize: 0
; MemoryBound: 0
; FloatMode: 240
; IeeeMode: 1
; LDSByteSize: 260 bytes/workgroup (compile time only)
; SGPRBlocks: 3
; VGPRBlocks: 1
; NumSGPRsForWavesPerEU: 31
; NumVGPRsForWavesPerEU: 10
; AccumOffset: 12
; Occupancy: 8
; WaveLimiterHint : 0
; COMPUTE_PGM_RSRC2:SCRATCH_EN: 0
; COMPUTE_PGM_RSRC2:USER_SGPR: 2
; COMPUTE_PGM_RSRC2:TRAP_HANDLER: 0
; COMPUTE_PGM_RSRC2:TGID_X_EN: 1
; COMPUTE_PGM_RSRC2:TGID_Y_EN: 0
; COMPUTE_PGM_RSRC2:TGID_Z_EN: 0
; COMPUTE_PGM_RSRC2:TIDIG_COMP_CNT: 0
; COMPUTE_PGM_RSRC3_GFX90A:ACCUM_OFFSET: 2
; COMPUTE_PGM_RSRC3_GFX90A:TG_SPLIT: 0
	.section	.text._ZN9rocsparseL14csr2coo_kernelILj256ELj8EliEEvT2_PKT1_S4_PS1_21rocsparse_index_base_,"axG",@progbits,_ZN9rocsparseL14csr2coo_kernelILj256ELj8EliEEvT2_PKT1_S4_PS1_21rocsparse_index_base_,comdat
	.globl	_ZN9rocsparseL14csr2coo_kernelILj256ELj8EliEEvT2_PKT1_S4_PS1_21rocsparse_index_base_ ; -- Begin function _ZN9rocsparseL14csr2coo_kernelILj256ELj8EliEEvT2_PKT1_S4_PS1_21rocsparse_index_base_
	.p2align	8
	.type	_ZN9rocsparseL14csr2coo_kernelILj256ELj8EliEEvT2_PKT1_S4_PS1_21rocsparse_index_base_,@function
_ZN9rocsparseL14csr2coo_kernelILj256ELj8EliEEvT2_PKT1_S4_PS1_21rocsparse_index_base_: ; @_ZN9rocsparseL14csr2coo_kernelILj256ELj8EliEEvT2_PKT1_S4_PS1_21rocsparse_index_base_
; %bb.0:
	s_load_dword s18, s[0:1], 0x0
	s_load_dwordx4 s[4:7], s[0:1], 0x8
	s_load_dwordx2 s[8:9], s[0:1], 0x18
	s_load_dword s19, s[0:1], 0x20
	v_lshrrev_b32_e32 v1, 3, v0
	s_lshl_b32 s20, s2, 5
	v_mov_b32_e32 v2, 1
	v_mov_b32_e32 v3, 0
	v_or_b32_e32 v4, s20, v1
	ds_write_b32 v3, v2 offset:128
	s_waitcnt lgkmcnt(0)
	v_cmp_gt_i32_e32 vcc, s18, v4
	v_mov_b64_e32 v[2:3], 0
	v_ashrrev_i32_e32 v5, 31, v4
	v_mov_b64_e32 v[6:7], 0
	s_barrier
	s_and_saveexec_b64 s[2:3], vcc
	s_cbranch_execz .LBB10_2
; %bb.1:
	v_lshl_add_u64 v[6:7], v[4:5], 3, s[4:5]
	global_load_dwordx2 v[6:7], v[6:7], off
	s_waitcnt vmcnt(0)
	v_subrev_co_u32_e64 v6, s[0:1], s19, v6
	s_nop 1
	v_subbrev_co_u32_e64 v7, s[0:1], 0, v7, s[0:1]
.LBB10_2:
	s_or_b64 exec, exec, s[2:3]
	s_and_saveexec_b64 s[0:1], vcc
	s_cbranch_execz .LBB10_4
; %bb.3:
	v_lshl_add_u64 v[2:3], v[4:5], 3, s[6:7]
	global_load_dwordx2 v[2:3], v[2:3], off
	s_waitcnt vmcnt(0)
	v_subrev_co_u32_e32 v2, vcc, s19, v2
	s_nop 1
	v_subbrev_co_u32_e32 v3, vcc, 0, v3, vcc
.LBB10_4:
	s_or_b64 exec, exec, s[0:1]
	v_sub_co_u32_e32 v8, vcc, v2, v6
	s_mov_b64 s[0:1], 0x41
	s_nop 0
	v_subb_co_u32_e32 v9, vcc, v3, v7, vcc
	v_cmp_gt_i64_e32 vcc, s[0:1], v[8:9]
	v_cmp_lt_i64_e64 s[0:1], 64, v[8:9]
	s_and_saveexec_b64 s[2:3], s[0:1]
	s_xor_b64 s[0:1], exec, s[2:3]
; %bb.5:
	v_mov_b32_e32 v2, 0
	ds_write_b32 v2, v2 offset:128
                                        ; implicit-def: $vgpr6_vgpr7
                                        ; implicit-def: $vgpr2_vgpr3
                                        ; implicit-def: $vgpr4
; %bb.6:
	s_andn2_saveexec_b64 s[2:3], s[0:1]
	s_cbranch_execz .LBB10_11
; %bb.7:
	v_and_b32_e32 v8, 7, v0
	v_mov_b32_e32 v9, 0
	v_lshl_add_u64 v[6:7], v[6:7], 0, v[8:9]
	v_cmp_lt_i64_e64 s[0:1], v[6:7], v[2:3]
	s_and_saveexec_b64 s[10:11], s[0:1]
	s_cbranch_execz .LBB10_10
; %bb.8:
	v_add_u32_e32 v8, s19, v4
	v_lshl_add_u64 v[4:5], v[6:7], 2, s[8:9]
	s_mov_b64 s[12:13], 0
.LBB10_9:                               ; =>This Inner Loop Header: Depth=1
	v_lshl_add_u64 v[6:7], v[6:7], 0, 8
	v_cmp_ge_i64_e64 s[0:1], v[6:7], v[2:3]
	global_store_dword v[4:5], v8, off
	s_or_b64 s[12:13], s[0:1], s[12:13]
	v_lshl_add_u64 v[4:5], v[4:5], 0, 32
	s_andn2_b64 exec, exec, s[12:13]
	s_cbranch_execnz .LBB10_9
.LBB10_10:
	s_or_b64 exec, exec, s[10:11]
.LBB10_11:
	s_or_b64 exec, exec, s[2:3]
	v_cndmask_b32_e64 v2, 0, 1, vcc
	v_lshlrev_b32_e32 v1, 2, v1
	ds_write_b32 v1, v2
	v_mov_b32_e32 v1, 0
	s_waitcnt lgkmcnt(0)
	s_barrier
	ds_read_b32 v2, v1 offset:128
	s_mov_b32 s21, 0
	s_waitcnt lgkmcnt(0)
	v_cmp_ne_u32_e32 vcc, 0, v2
	s_cbranch_vccz .LBB10_13
.LBB10_12:
	s_endpgm
.LBB10_13:
	s_or_b32 s22, s20, 1
	s_ashr_i32 s23, s20, 31
	s_mov_b64 s[0:1], 0x100
	s_mov_b64 s[2:3], 0x400
	s_branch .LBB10_16
.LBB10_14:                              ;   in Loop: Header=BB10_16 Depth=1
	s_or_b64 exec, exec, s[12:13]
.LBB10_15:                              ;   in Loop: Header=BB10_16 Depth=1
	s_add_i32 s21, s21, 2
	s_cmp_lg_u32 s21, 32
	s_cbranch_scc0 .LBB10_12
.LBB10_16:                              ; =>This Loop Header: Depth=1
                                        ;     Child Loop BB10_23 Depth 2
                                        ;     Child Loop BB10_32 Depth 2
	s_lshl_b32 s24, s21, 2
	v_mov_b32_e32 v2, s24
	ds_read_b32 v2, v2
	s_waitcnt lgkmcnt(0)
	v_cmp_ne_u32_e32 vcc, 0, v2
	s_cbranch_vccnz .LBB10_25
; %bb.17:                               ;   in Loop: Header=BB10_16 Depth=1
	s_or_b32 s12, s21, s20
	s_cmp_lt_i32 s12, s18
	s_mov_b64 s[10:11], 0
	s_cselect_b64 s[16:17], -1, 0
	s_cmp_ge_i32 s12, s18
	s_mov_b64 s[14:15], 0
	s_cbranch_scc0 .LBB10_20
; %bb.18:                               ;   in Loop: Header=BB10_16 Depth=1
	s_andn2_b64 vcc, exec, s[16:17]
	s_cbranch_vccz .LBB10_21
.LBB10_19:                              ;   in Loop: Header=BB10_16 Depth=1
	v_lshl_add_u64 v[2:3], s[14:15], 0, v[0:1]
	v_cmp_gt_i64_e32 vcc, s[10:11], v[2:3]
	s_and_saveexec_b64 s[14:15], vcc
	s_cbranch_execnz .LBB10_22
	s_branch .LBB10_24
.LBB10_20:                              ;   in Loop: Header=BB10_16 Depth=1
	s_ashr_i32 s13, s12, 31
	s_lshl_b64 s[14:15], s[12:13], 3
	s_add_u32 s14, s4, s14
	s_addc_u32 s15, s5, s15
	s_load_dwordx2 s[14:15], s[14:15], 0x0
	s_waitcnt lgkmcnt(0)
	s_sub_u32 s14, s14, s19
	s_subb_u32 s15, s15, 0
	s_andn2_b64 vcc, exec, s[16:17]
	s_cbranch_vccnz .LBB10_19
.LBB10_21:                              ;   in Loop: Header=BB10_16 Depth=1
	s_ashr_i32 s13, s12, 31
	s_lshl_b64 s[10:11], s[12:13], 3
	s_add_u32 s10, s6, s10
	s_addc_u32 s11, s7, s11
	s_load_dwordx2 s[10:11], s[10:11], 0x0
	s_waitcnt lgkmcnt(0)
	s_sub_u32 s10, s10, s19
	s_subb_u32 s11, s11, 0
	v_lshl_add_u64 v[2:3], s[14:15], 0, v[0:1]
	v_cmp_gt_i64_e32 vcc, s[10:11], v[2:3]
	s_and_saveexec_b64 s[14:15], vcc
	s_cbranch_execz .LBB10_24
.LBB10_22:                              ;   in Loop: Header=BB10_16 Depth=1
	s_add_i32 s16, s12, s19
	v_lshl_add_u64 v[4:5], v[2:3], 2, s[8:9]
	s_mov_b64 s[12:13], 0
	v_mov_b32_e32 v6, s16
.LBB10_23:                              ;   Parent Loop BB10_16 Depth=1
                                        ; =>  This Inner Loop Header: Depth=2
	v_lshl_add_u64 v[2:3], v[2:3], 0, s[0:1]
	v_cmp_le_i64_e32 vcc, s[10:11], v[2:3]
	global_store_dword v[4:5], v6, off
	s_or_b64 s[12:13], vcc, s[12:13]
	v_lshl_add_u64 v[4:5], v[4:5], 0, s[2:3]
	s_andn2_b64 exec, exec, s[12:13]
	s_cbranch_execnz .LBB10_23
.LBB10_24:                              ;   in Loop: Header=BB10_16 Depth=1
	s_or_b64 exec, exec, s[14:15]
.LBB10_25:                              ;   in Loop: Header=BB10_16 Depth=1
	v_mov_b32_e32 v2, s24
	ds_read_b32 v2, v2 offset:4
	s_waitcnt lgkmcnt(0)
	v_cmp_ne_u32_e32 vcc, 0, v2
	s_cbranch_vccnz .LBB10_15
; %bb.26:                               ;   in Loop: Header=BB10_16 Depth=1
	s_or_b32 s16, s21, s22
	s_cmp_lt_i32 s16, s18
	s_mov_b64 s[10:11], 0
	s_cselect_b64 s[14:15], -1, 0
	s_cmp_ge_i32 s16, s18
	s_mov_b64 s[12:13], 0
	s_cbranch_scc0 .LBB10_29
; %bb.27:                               ;   in Loop: Header=BB10_16 Depth=1
	s_andn2_b64 vcc, exec, s[14:15]
	s_cbranch_vccz .LBB10_30
.LBB10_28:                              ;   in Loop: Header=BB10_16 Depth=1
	v_lshl_add_u64 v[2:3], s[12:13], 0, v[0:1]
	v_cmp_gt_i64_e32 vcc, s[10:11], v[2:3]
	s_and_saveexec_b64 s[12:13], vcc
	s_cbranch_execz .LBB10_14
	s_branch .LBB10_31
.LBB10_29:                              ;   in Loop: Header=BB10_16 Depth=1
	s_ashr_i32 s13, s21, 31
	s_add_u32 s12, s21, s20
	s_addc_u32 s13, s13, s23
	s_lshl_b64 s[12:13], s[12:13], 3
	s_add_u32 s12, s4, s12
	s_addc_u32 s13, s5, s13
	s_load_dwordx2 s[12:13], s[12:13], 0x8
	s_waitcnt lgkmcnt(0)
	s_sub_u32 s12, s12, s19
	s_subb_u32 s13, s13, 0
	s_andn2_b64 vcc, exec, s[14:15]
	s_cbranch_vccnz .LBB10_28
.LBB10_30:                              ;   in Loop: Header=BB10_16 Depth=1
	s_ashr_i32 s11, s21, 31
	s_add_u32 s10, s21, s20
	s_addc_u32 s11, s11, s23
	s_lshl_b64 s[10:11], s[10:11], 3
	s_add_u32 s10, s6, s10
	s_addc_u32 s11, s7, s11
	s_load_dwordx2 s[10:11], s[10:11], 0x8
	s_waitcnt lgkmcnt(0)
	s_sub_u32 s10, s10, s19
	s_subb_u32 s11, s11, 0
	v_lshl_add_u64 v[2:3], s[12:13], 0, v[0:1]
	v_cmp_gt_i64_e32 vcc, s[10:11], v[2:3]
	s_and_saveexec_b64 s[12:13], vcc
	s_cbranch_execz .LBB10_14
.LBB10_31:                              ;   in Loop: Header=BB10_16 Depth=1
	s_add_i32 s16, s16, s19
	v_lshl_add_u64 v[4:5], v[2:3], 2, s[8:9]
	s_mov_b64 s[14:15], 0
	v_mov_b32_e32 v6, s16
.LBB10_32:                              ;   Parent Loop BB10_16 Depth=1
                                        ; =>  This Inner Loop Header: Depth=2
	v_lshl_add_u64 v[2:3], v[2:3], 0, s[0:1]
	v_cmp_le_i64_e32 vcc, s[10:11], v[2:3]
	global_store_dword v[4:5], v6, off
	s_or_b64 s[14:15], vcc, s[14:15]
	v_lshl_add_u64 v[4:5], v[4:5], 0, s[2:3]
	s_andn2_b64 exec, exec, s[14:15]
	s_cbranch_execnz .LBB10_32
	s_branch .LBB10_14
	.section	.rodata,"a",@progbits
	.p2align	6, 0x0
	.amdhsa_kernel _ZN9rocsparseL14csr2coo_kernelILj256ELj8EliEEvT2_PKT1_S4_PS1_21rocsparse_index_base_
		.amdhsa_group_segment_fixed_size 132
		.amdhsa_private_segment_fixed_size 0
		.amdhsa_kernarg_size 36
		.amdhsa_user_sgpr_count 2
		.amdhsa_user_sgpr_dispatch_ptr 0
		.amdhsa_user_sgpr_queue_ptr 0
		.amdhsa_user_sgpr_kernarg_segment_ptr 1
		.amdhsa_user_sgpr_dispatch_id 0
		.amdhsa_user_sgpr_kernarg_preload_length 0
		.amdhsa_user_sgpr_kernarg_preload_offset 0
		.amdhsa_user_sgpr_private_segment_size 0
		.amdhsa_uses_dynamic_stack 0
		.amdhsa_enable_private_segment 0
		.amdhsa_system_sgpr_workgroup_id_x 1
		.amdhsa_system_sgpr_workgroup_id_y 0
		.amdhsa_system_sgpr_workgroup_id_z 0
		.amdhsa_system_sgpr_workgroup_info 0
		.amdhsa_system_vgpr_workitem_id 0
		.amdhsa_next_free_vgpr 10
		.amdhsa_next_free_sgpr 25
		.amdhsa_accum_offset 12
		.amdhsa_reserve_vcc 1
		.amdhsa_float_round_mode_32 0
		.amdhsa_float_round_mode_16_64 0
		.amdhsa_float_denorm_mode_32 3
		.amdhsa_float_denorm_mode_16_64 3
		.amdhsa_dx10_clamp 1
		.amdhsa_ieee_mode 1
		.amdhsa_fp16_overflow 0
		.amdhsa_tg_split 0
		.amdhsa_exception_fp_ieee_invalid_op 0
		.amdhsa_exception_fp_denorm_src 0
		.amdhsa_exception_fp_ieee_div_zero 0
		.amdhsa_exception_fp_ieee_overflow 0
		.amdhsa_exception_fp_ieee_underflow 0
		.amdhsa_exception_fp_ieee_inexact 0
		.amdhsa_exception_int_div_zero 0
	.end_amdhsa_kernel
	.section	.text._ZN9rocsparseL14csr2coo_kernelILj256ELj8EliEEvT2_PKT1_S4_PS1_21rocsparse_index_base_,"axG",@progbits,_ZN9rocsparseL14csr2coo_kernelILj256ELj8EliEEvT2_PKT1_S4_PS1_21rocsparse_index_base_,comdat
.Lfunc_end10:
	.size	_ZN9rocsparseL14csr2coo_kernelILj256ELj8EliEEvT2_PKT1_S4_PS1_21rocsparse_index_base_, .Lfunc_end10-_ZN9rocsparseL14csr2coo_kernelILj256ELj8EliEEvT2_PKT1_S4_PS1_21rocsparse_index_base_
                                        ; -- End function
	.set _ZN9rocsparseL14csr2coo_kernelILj256ELj8EliEEvT2_PKT1_S4_PS1_21rocsparse_index_base_.num_vgpr, 10
	.set _ZN9rocsparseL14csr2coo_kernelILj256ELj8EliEEvT2_PKT1_S4_PS1_21rocsparse_index_base_.num_agpr, 0
	.set _ZN9rocsparseL14csr2coo_kernelILj256ELj8EliEEvT2_PKT1_S4_PS1_21rocsparse_index_base_.numbered_sgpr, 25
	.set _ZN9rocsparseL14csr2coo_kernelILj256ELj8EliEEvT2_PKT1_S4_PS1_21rocsparse_index_base_.num_named_barrier, 0
	.set _ZN9rocsparseL14csr2coo_kernelILj256ELj8EliEEvT2_PKT1_S4_PS1_21rocsparse_index_base_.private_seg_size, 0
	.set _ZN9rocsparseL14csr2coo_kernelILj256ELj8EliEEvT2_PKT1_S4_PS1_21rocsparse_index_base_.uses_vcc, 1
	.set _ZN9rocsparseL14csr2coo_kernelILj256ELj8EliEEvT2_PKT1_S4_PS1_21rocsparse_index_base_.uses_flat_scratch, 0
	.set _ZN9rocsparseL14csr2coo_kernelILj256ELj8EliEEvT2_PKT1_S4_PS1_21rocsparse_index_base_.has_dyn_sized_stack, 0
	.set _ZN9rocsparseL14csr2coo_kernelILj256ELj8EliEEvT2_PKT1_S4_PS1_21rocsparse_index_base_.has_recursion, 0
	.set _ZN9rocsparseL14csr2coo_kernelILj256ELj8EliEEvT2_PKT1_S4_PS1_21rocsparse_index_base_.has_indirect_call, 0
	.section	.AMDGPU.csdata,"",@progbits
; Kernel info:
; codeLenInByte = 960
; TotalNumSgprs: 31
; NumVgprs: 10
; NumAgprs: 0
; TotalNumVgprs: 10
; ScratchSize: 0
; MemoryBound: 0
; FloatMode: 240
; IeeeMode: 1
; LDSByteSize: 132 bytes/workgroup (compile time only)
; SGPRBlocks: 3
; VGPRBlocks: 1
; NumSGPRsForWavesPerEU: 31
; NumVGPRsForWavesPerEU: 10
; AccumOffset: 12
; Occupancy: 8
; WaveLimiterHint : 0
; COMPUTE_PGM_RSRC2:SCRATCH_EN: 0
; COMPUTE_PGM_RSRC2:USER_SGPR: 2
; COMPUTE_PGM_RSRC2:TRAP_HANDLER: 0
; COMPUTE_PGM_RSRC2:TGID_X_EN: 1
; COMPUTE_PGM_RSRC2:TGID_Y_EN: 0
; COMPUTE_PGM_RSRC2:TGID_Z_EN: 0
; COMPUTE_PGM_RSRC2:TIDIG_COMP_CNT: 0
; COMPUTE_PGM_RSRC3_GFX90A:ACCUM_OFFSET: 2
; COMPUTE_PGM_RSRC3_GFX90A:TG_SPLIT: 0
	.section	.text._ZN9rocsparseL14csr2coo_kernelILj256ELj16EliEEvT2_PKT1_S4_PS1_21rocsparse_index_base_,"axG",@progbits,_ZN9rocsparseL14csr2coo_kernelILj256ELj16EliEEvT2_PKT1_S4_PS1_21rocsparse_index_base_,comdat
	.globl	_ZN9rocsparseL14csr2coo_kernelILj256ELj16EliEEvT2_PKT1_S4_PS1_21rocsparse_index_base_ ; -- Begin function _ZN9rocsparseL14csr2coo_kernelILj256ELj16EliEEvT2_PKT1_S4_PS1_21rocsparse_index_base_
	.p2align	8
	.type	_ZN9rocsparseL14csr2coo_kernelILj256ELj16EliEEvT2_PKT1_S4_PS1_21rocsparse_index_base_,@function
_ZN9rocsparseL14csr2coo_kernelILj256ELj16EliEEvT2_PKT1_S4_PS1_21rocsparse_index_base_: ; @_ZN9rocsparseL14csr2coo_kernelILj256ELj16EliEEvT2_PKT1_S4_PS1_21rocsparse_index_base_
; %bb.0:
	s_load_dword s19, s[0:1], 0x0
	s_load_dwordx4 s[4:7], s[0:1], 0x8
	s_load_dwordx2 s[8:9], s[0:1], 0x18
	s_load_dword s18, s[0:1], 0x20
	v_lshrrev_b32_e32 v1, 4, v0
	s_lshl_b32 s2, s2, 4
	v_mov_b32_e32 v2, 1
	v_mov_b32_e32 v3, 0
	v_or_b32_e32 v4, s2, v1
	ds_write_b32 v3, v2 offset:64
	s_waitcnt lgkmcnt(0)
	v_cmp_gt_i32_e32 vcc, s19, v4
	v_mov_b64_e32 v[2:3], 0
	v_ashrrev_i32_e32 v5, 31, v4
	v_mov_b64_e32 v[6:7], 0
	s_barrier
	s_and_saveexec_b64 s[10:11], vcc
	s_cbranch_execz .LBB11_2
; %bb.1:
	v_lshl_add_u64 v[6:7], v[4:5], 3, s[4:5]
	global_load_dwordx2 v[6:7], v[6:7], off
	s_waitcnt vmcnt(0)
	v_subrev_co_u32_e64 v6, s[0:1], s18, v6
	s_nop 1
	v_subbrev_co_u32_e64 v7, s[0:1], 0, v7, s[0:1]
.LBB11_2:
	s_or_b64 exec, exec, s[10:11]
	s_and_saveexec_b64 s[0:1], vcc
	s_cbranch_execz .LBB11_4
; %bb.3:
	v_lshl_add_u64 v[2:3], v[4:5], 3, s[6:7]
	global_load_dwordx2 v[2:3], v[2:3], off
	s_waitcnt vmcnt(0)
	v_subrev_co_u32_e32 v2, vcc, s18, v2
	s_nop 1
	v_subbrev_co_u32_e32 v3, vcc, 0, v3, vcc
.LBB11_4:
	s_or_b64 exec, exec, s[0:1]
	v_sub_co_u32_e32 v8, vcc, v2, v6
	s_mov_b64 s[0:1], 0x81
	s_nop 0
	v_subb_co_u32_e32 v9, vcc, v3, v7, vcc
	v_cmp_gt_i64_e32 vcc, s[0:1], v[8:9]
	s_mov_b64 s[0:1], 0x80
	v_cmp_lt_i64_e64 s[0:1], s[0:1], v[8:9]
	s_and_saveexec_b64 s[10:11], s[0:1]
	s_xor_b64 s[0:1], exec, s[10:11]
; %bb.5:
	v_mov_b32_e32 v2, 0
	ds_write_b32 v2, v2 offset:64
                                        ; implicit-def: $vgpr6_vgpr7
                                        ; implicit-def: $vgpr2_vgpr3
                                        ; implicit-def: $vgpr4
; %bb.6:
	s_andn2_saveexec_b64 s[10:11], s[0:1]
	s_cbranch_execz .LBB11_11
; %bb.7:
	v_and_b32_e32 v8, 15, v0
	v_mov_b32_e32 v9, 0
	v_lshl_add_u64 v[6:7], v[6:7], 0, v[8:9]
	v_cmp_lt_i64_e64 s[0:1], v[6:7], v[2:3]
	s_and_saveexec_b64 s[12:13], s[0:1]
	s_cbranch_execz .LBB11_10
; %bb.8:
	v_add_u32_e32 v8, s18, v4
	v_lshl_add_u64 v[4:5], v[6:7], 2, s[8:9]
	s_mov_b64 s[14:15], 0
.LBB11_9:                               ; =>This Inner Loop Header: Depth=1
	v_lshl_add_u64 v[6:7], v[6:7], 0, 16
	v_cmp_ge_i64_e64 s[0:1], v[6:7], v[2:3]
	global_store_dword v[4:5], v8, off
	s_or_b64 s[14:15], s[0:1], s[14:15]
	v_lshl_add_u64 v[4:5], v[4:5], 0, 64
	s_andn2_b64 exec, exec, s[14:15]
	s_cbranch_execnz .LBB11_9
.LBB11_10:
	s_or_b64 exec, exec, s[12:13]
.LBB11_11:
	s_or_b64 exec, exec, s[10:11]
	v_cndmask_b32_e64 v2, 0, 1, vcc
	v_lshlrev_b32_e32 v1, 2, v1
	ds_write_b32 v1, v2
	v_mov_b32_e32 v1, 0
	s_waitcnt lgkmcnt(0)
	s_barrier
	ds_read_b32 v2, v1 offset:64
	s_waitcnt lgkmcnt(0)
	v_cmp_ne_u32_e32 vcc, 0, v2
	s_cbranch_vccnz .LBB11_155
; %bb.12:
	ds_read_b32 v2, v1
	s_waitcnt lgkmcnt(0)
	v_cmp_ne_u32_e32 vcc, 0, v2
	s_cbranch_vccnz .LBB11_21
; %bb.13:
	s_cmp_lt_i32 s2, s19
	s_mov_b64 s[0:1], 0
	s_cselect_b64 s[12:13], -1, 0
	s_cmp_ge_i32 s2, s19
	s_mov_b64 s[10:11], 0
	s_cbranch_scc0 .LBB11_16
; %bb.14:
	s_andn2_b64 vcc, exec, s[12:13]
	s_cbranch_vccz .LBB11_17
.LBB11_15:
	v_lshl_add_u64 v[2:3], s[10:11], 0, v[0:1]
	v_cmp_gt_i64_e32 vcc, s[0:1], v[2:3]
	s_and_saveexec_b64 s[10:11], vcc
	s_cbranch_execnz .LBB11_18
	s_branch .LBB11_20
.LBB11_16:
	s_ashr_i32 s3, s2, 31
	s_lshl_b64 s[10:11], s[2:3], 3
	s_add_u32 s10, s4, s10
	s_addc_u32 s11, s5, s11
	s_load_dwordx2 s[10:11], s[10:11], 0x0
	s_waitcnt lgkmcnt(0)
	s_sub_u32 s10, s10, s18
	s_subb_u32 s11, s11, 0
	s_andn2_b64 vcc, exec, s[12:13]
	s_cbranch_vccnz .LBB11_15
.LBB11_17:
	s_ashr_i32 s3, s2, 31
	s_lshl_b64 s[0:1], s[2:3], 3
	s_add_u32 s0, s6, s0
	s_addc_u32 s1, s7, s1
	s_load_dwordx2 s[0:1], s[0:1], 0x0
	s_waitcnt lgkmcnt(0)
	s_sub_u32 s0, s0, s18
	s_subb_u32 s1, s1, 0
	v_lshl_add_u64 v[2:3], s[10:11], 0, v[0:1]
	v_cmp_gt_i64_e32 vcc, s[0:1], v[2:3]
	s_and_saveexec_b64 s[10:11], vcc
	s_cbranch_execz .LBB11_20
.LBB11_18:
	s_add_i32 s3, s2, s18
	v_lshl_add_u64 v[4:5], v[2:3], 2, s[8:9]
	s_mov_b64 s[12:13], 0
	v_mov_b32_e32 v6, s3
	s_mov_b64 s[14:15], 0x100
	s_mov_b64 s[16:17], 0x400
.LBB11_19:                              ; =>This Inner Loop Header: Depth=1
	v_lshl_add_u64 v[2:3], v[2:3], 0, s[14:15]
	v_cmp_le_i64_e32 vcc, s[0:1], v[2:3]
	global_store_dword v[4:5], v6, off
	s_or_b64 s[12:13], vcc, s[12:13]
	v_lshl_add_u64 v[4:5], v[4:5], 0, s[16:17]
	s_andn2_b64 exec, exec, s[12:13]
	s_cbranch_execnz .LBB11_19
.LBB11_20:
	s_or_b64 exec, exec, s[10:11]
.LBB11_21:
	v_mov_b32_e32 v6, 0
	ds_read_b32 v2, v6 offset:4
	s_waitcnt lgkmcnt(0)
	v_cmp_ne_u32_e32 vcc, 0, v2
	s_cbranch_vccz .LBB11_23
; %bb.22:
	ds_read_b32 v2, v6 offset:8
	s_waitcnt lgkmcnt(0)
	v_cmp_ne_u32_e32 vcc, 0, v2
	s_cbranch_vccnz .LBB11_39
	s_branch .LBB11_31
.LBB11_23:
	s_or_b32 s14, s2, 1
	s_cmp_lt_i32 s14, s19
	s_mov_b64 s[0:1], 0
	s_cselect_b64 s[12:13], -1, 0
	s_cmp_ge_i32 s14, s19
	s_mov_b64 s[10:11], 0
	s_cbranch_scc0 .LBB11_26
; %bb.24:
	s_andn2_b64 vcc, exec, s[12:13]
	s_cbranch_vccz .LBB11_27
.LBB11_25:
	v_lshl_add_u64 v[2:3], s[10:11], 0, v[0:1]
	v_cmp_gt_i64_e32 vcc, s[0:1], v[2:3]
	s_and_saveexec_b64 s[10:11], vcc
	s_cbranch_execnz .LBB11_28
	s_branch .LBB11_30
.LBB11_26:
	s_ashr_i32 s3, s2, 31
	s_lshl_b64 s[10:11], s[2:3], 3
	s_add_u32 s10, s4, s10
	s_addc_u32 s11, s5, s11
	s_load_dwordx2 s[10:11], s[10:11], 0x8
	s_waitcnt lgkmcnt(0)
	s_sub_u32 s10, s10, s18
	s_subb_u32 s11, s11, 0
	s_andn2_b64 vcc, exec, s[12:13]
	s_cbranch_vccnz .LBB11_25
.LBB11_27:
	s_ashr_i32 s3, s2, 31
	s_lshl_b64 s[0:1], s[2:3], 3
	s_add_u32 s0, s6, s0
	s_addc_u32 s1, s7, s1
	s_load_dwordx2 s[0:1], s[0:1], 0x8
	s_waitcnt lgkmcnt(0)
	s_sub_u32 s0, s0, s18
	s_subb_u32 s1, s1, 0
	v_lshl_add_u64 v[2:3], s[10:11], 0, v[0:1]
	v_cmp_gt_i64_e32 vcc, s[0:1], v[2:3]
	s_and_saveexec_b64 s[10:11], vcc
	s_cbranch_execz .LBB11_30
.LBB11_28:
	s_add_i32 s3, s14, s18
	v_lshl_add_u64 v[4:5], v[2:3], 2, s[8:9]
	s_mov_b64 s[12:13], 0
	v_mov_b32_e32 v7, s3
	s_mov_b64 s[14:15], 0x100
	s_mov_b64 s[16:17], 0x400
.LBB11_29:                              ; =>This Inner Loop Header: Depth=1
	v_lshl_add_u64 v[2:3], v[2:3], 0, s[14:15]
	v_cmp_le_i64_e32 vcc, s[0:1], v[2:3]
	global_store_dword v[4:5], v7, off
	s_or_b64 s[12:13], vcc, s[12:13]
	v_lshl_add_u64 v[4:5], v[4:5], 0, s[16:17]
	s_andn2_b64 exec, exec, s[12:13]
	s_cbranch_execnz .LBB11_29
.LBB11_30:
	s_or_b64 exec, exec, s[10:11]
	ds_read_b32 v2, v6 offset:8
	s_waitcnt lgkmcnt(0)
	v_cmp_ne_u32_e32 vcc, 0, v2
	s_cbranch_vccnz .LBB11_39
.LBB11_31:
	s_or_b32 s14, s2, 2
	s_cmp_lt_i32 s14, s19
	s_mov_b64 s[0:1], 0
	s_cselect_b64 s[12:13], -1, 0
	s_cmp_ge_i32 s14, s19
	s_mov_b64 s[10:11], 0
	s_cbranch_scc0 .LBB11_34
; %bb.32:
	s_andn2_b64 vcc, exec, s[12:13]
	s_cbranch_vccz .LBB11_35
.LBB11_33:
	v_lshl_add_u64 v[2:3], s[10:11], 0, v[0:1]
	v_cmp_gt_i64_e32 vcc, s[0:1], v[2:3]
	s_and_saveexec_b64 s[10:11], vcc
	s_cbranch_execnz .LBB11_36
	s_branch .LBB11_38
.LBB11_34:
	s_ashr_i32 s3, s2, 31
	s_lshl_b64 s[10:11], s[2:3], 3
	s_add_u32 s10, s4, s10
	s_addc_u32 s11, s5, s11
	s_load_dwordx2 s[10:11], s[10:11], 0x10
	s_waitcnt lgkmcnt(0)
	s_sub_u32 s10, s10, s18
	s_subb_u32 s11, s11, 0
	s_andn2_b64 vcc, exec, s[12:13]
	s_cbranch_vccnz .LBB11_33
.LBB11_35:
	s_ashr_i32 s3, s2, 31
	s_lshl_b64 s[0:1], s[2:3], 3
	s_add_u32 s0, s6, s0
	s_addc_u32 s1, s7, s1
	s_load_dwordx2 s[0:1], s[0:1], 0x10
	s_waitcnt lgkmcnt(0)
	s_sub_u32 s0, s0, s18
	s_subb_u32 s1, s1, 0
	v_lshl_add_u64 v[2:3], s[10:11], 0, v[0:1]
	v_cmp_gt_i64_e32 vcc, s[0:1], v[2:3]
	s_and_saveexec_b64 s[10:11], vcc
	s_cbranch_execz .LBB11_38
.LBB11_36:
	s_add_i32 s3, s14, s18
	v_lshl_add_u64 v[4:5], v[2:3], 2, s[8:9]
	s_mov_b64 s[12:13], 0
	v_mov_b32_e32 v6, s3
	s_mov_b64 s[14:15], 0x100
	s_mov_b64 s[16:17], 0x400
.LBB11_37:                              ; =>This Inner Loop Header: Depth=1
	v_lshl_add_u64 v[2:3], v[2:3], 0, s[14:15]
	v_cmp_le_i64_e32 vcc, s[0:1], v[2:3]
	global_store_dword v[4:5], v6, off
	s_or_b64 s[12:13], vcc, s[12:13]
	v_lshl_add_u64 v[4:5], v[4:5], 0, s[16:17]
	s_andn2_b64 exec, exec, s[12:13]
	s_cbranch_execnz .LBB11_37
.LBB11_38:
	s_or_b64 exec, exec, s[10:11]
.LBB11_39:
	v_mov_b32_e32 v6, 0
	ds_read_b32 v2, v6 offset:12
	s_waitcnt lgkmcnt(0)
	v_cmp_ne_u32_e32 vcc, 0, v2
	s_cbranch_vccz .LBB11_41
; %bb.40:
	ds_read_b32 v2, v6 offset:16
	s_waitcnt lgkmcnt(0)
	v_cmp_ne_u32_e32 vcc, 0, v2
	s_cbranch_vccnz .LBB11_57
	s_branch .LBB11_49
.LBB11_41:
	s_or_b32 s14, s2, 3
	s_cmp_lt_i32 s14, s19
	s_mov_b64 s[0:1], 0
	s_cselect_b64 s[12:13], -1, 0
	s_cmp_ge_i32 s14, s19
	s_mov_b64 s[10:11], 0
	s_cbranch_scc0 .LBB11_44
; %bb.42:
	s_andn2_b64 vcc, exec, s[12:13]
	s_cbranch_vccz .LBB11_45
.LBB11_43:
	v_lshl_add_u64 v[2:3], s[10:11], 0, v[0:1]
	v_cmp_gt_i64_e32 vcc, s[0:1], v[2:3]
	s_and_saveexec_b64 s[10:11], vcc
	s_cbranch_execnz .LBB11_46
	s_branch .LBB11_48
.LBB11_44:
	s_ashr_i32 s3, s2, 31
	s_lshl_b64 s[10:11], s[2:3], 3
	s_add_u32 s10, s4, s10
	s_addc_u32 s11, s5, s11
	s_load_dwordx2 s[10:11], s[10:11], 0x18
	s_waitcnt lgkmcnt(0)
	s_sub_u32 s10, s10, s18
	s_subb_u32 s11, s11, 0
	s_andn2_b64 vcc, exec, s[12:13]
	s_cbranch_vccnz .LBB11_43
.LBB11_45:
	s_ashr_i32 s3, s2, 31
	s_lshl_b64 s[0:1], s[2:3], 3
	s_add_u32 s0, s6, s0
	s_addc_u32 s1, s7, s1
	s_load_dwordx2 s[0:1], s[0:1], 0x18
	s_waitcnt lgkmcnt(0)
	s_sub_u32 s0, s0, s18
	s_subb_u32 s1, s1, 0
	v_lshl_add_u64 v[2:3], s[10:11], 0, v[0:1]
	v_cmp_gt_i64_e32 vcc, s[0:1], v[2:3]
	s_and_saveexec_b64 s[10:11], vcc
	s_cbranch_execz .LBB11_48
.LBB11_46:
	s_add_i32 s3, s14, s18
	v_lshl_add_u64 v[4:5], v[2:3], 2, s[8:9]
	s_mov_b64 s[12:13], 0
	v_mov_b32_e32 v7, s3
	s_mov_b64 s[14:15], 0x100
	s_mov_b64 s[16:17], 0x400
.LBB11_47:                              ; =>This Inner Loop Header: Depth=1
	v_lshl_add_u64 v[2:3], v[2:3], 0, s[14:15]
	v_cmp_le_i64_e32 vcc, s[0:1], v[2:3]
	global_store_dword v[4:5], v7, off
	s_or_b64 s[12:13], vcc, s[12:13]
	v_lshl_add_u64 v[4:5], v[4:5], 0, s[16:17]
	s_andn2_b64 exec, exec, s[12:13]
	s_cbranch_execnz .LBB11_47
.LBB11_48:
	s_or_b64 exec, exec, s[10:11]
	ds_read_b32 v2, v6 offset:16
	s_waitcnt lgkmcnt(0)
	v_cmp_ne_u32_e32 vcc, 0, v2
	s_cbranch_vccnz .LBB11_57
.LBB11_49:
	s_or_b32 s14, s2, 4
	s_cmp_lt_i32 s14, s19
	s_mov_b64 s[0:1], 0
	s_cselect_b64 s[12:13], -1, 0
	s_cmp_ge_i32 s14, s19
	s_mov_b64 s[10:11], 0
	s_cbranch_scc0 .LBB11_52
; %bb.50:
	s_andn2_b64 vcc, exec, s[12:13]
	s_cbranch_vccz .LBB11_53
.LBB11_51:
	v_lshl_add_u64 v[2:3], s[10:11], 0, v[0:1]
	v_cmp_gt_i64_e32 vcc, s[0:1], v[2:3]
	s_and_saveexec_b64 s[10:11], vcc
	s_cbranch_execnz .LBB11_54
	s_branch .LBB11_56
.LBB11_52:
	s_ashr_i32 s3, s2, 31
	s_lshl_b64 s[10:11], s[2:3], 3
	s_add_u32 s10, s4, s10
	s_addc_u32 s11, s5, s11
	s_load_dwordx2 s[10:11], s[10:11], 0x20
	s_waitcnt lgkmcnt(0)
	s_sub_u32 s10, s10, s18
	s_subb_u32 s11, s11, 0
	s_andn2_b64 vcc, exec, s[12:13]
	s_cbranch_vccnz .LBB11_51
.LBB11_53:
	s_ashr_i32 s3, s2, 31
	s_lshl_b64 s[0:1], s[2:3], 3
	s_add_u32 s0, s6, s0
	s_addc_u32 s1, s7, s1
	s_load_dwordx2 s[0:1], s[0:1], 0x20
	s_waitcnt lgkmcnt(0)
	s_sub_u32 s0, s0, s18
	s_subb_u32 s1, s1, 0
	v_lshl_add_u64 v[2:3], s[10:11], 0, v[0:1]
	v_cmp_gt_i64_e32 vcc, s[0:1], v[2:3]
	s_and_saveexec_b64 s[10:11], vcc
	s_cbranch_execz .LBB11_56
.LBB11_54:
	s_add_i32 s3, s14, s18
	v_lshl_add_u64 v[4:5], v[2:3], 2, s[8:9]
	s_mov_b64 s[12:13], 0
	v_mov_b32_e32 v6, s3
	s_mov_b64 s[14:15], 0x100
	s_mov_b64 s[16:17], 0x400
.LBB11_55:                              ; =>This Inner Loop Header: Depth=1
	v_lshl_add_u64 v[2:3], v[2:3], 0, s[14:15]
	v_cmp_le_i64_e32 vcc, s[0:1], v[2:3]
	global_store_dword v[4:5], v6, off
	s_or_b64 s[12:13], vcc, s[12:13]
	v_lshl_add_u64 v[4:5], v[4:5], 0, s[16:17]
	s_andn2_b64 exec, exec, s[12:13]
	s_cbranch_execnz .LBB11_55
.LBB11_56:
	s_or_b64 exec, exec, s[10:11]
.LBB11_57:
	v_mov_b32_e32 v6, 0
	ds_read_b32 v2, v6 offset:20
	s_waitcnt lgkmcnt(0)
	v_cmp_ne_u32_e32 vcc, 0, v2
	s_cbranch_vccz .LBB11_59
; %bb.58:
	ds_read_b32 v2, v6 offset:24
	s_waitcnt lgkmcnt(0)
	v_cmp_ne_u32_e32 vcc, 0, v2
	s_cbranch_vccnz .LBB11_75
	s_branch .LBB11_67
.LBB11_59:
	s_or_b32 s14, s2, 5
	s_cmp_lt_i32 s14, s19
	s_mov_b64 s[0:1], 0
	s_cselect_b64 s[12:13], -1, 0
	s_cmp_ge_i32 s14, s19
	s_mov_b64 s[10:11], 0
	s_cbranch_scc0 .LBB11_62
; %bb.60:
	s_andn2_b64 vcc, exec, s[12:13]
	s_cbranch_vccz .LBB11_63
.LBB11_61:
	v_lshl_add_u64 v[2:3], s[10:11], 0, v[0:1]
	v_cmp_gt_i64_e32 vcc, s[0:1], v[2:3]
	s_and_saveexec_b64 s[10:11], vcc
	s_cbranch_execnz .LBB11_64
	s_branch .LBB11_66
.LBB11_62:
	s_ashr_i32 s3, s2, 31
	s_lshl_b64 s[10:11], s[2:3], 3
	s_add_u32 s10, s4, s10
	s_addc_u32 s11, s5, s11
	s_load_dwordx2 s[10:11], s[10:11], 0x28
	s_waitcnt lgkmcnt(0)
	s_sub_u32 s10, s10, s18
	s_subb_u32 s11, s11, 0
	s_andn2_b64 vcc, exec, s[12:13]
	s_cbranch_vccnz .LBB11_61
.LBB11_63:
	s_ashr_i32 s3, s2, 31
	s_lshl_b64 s[0:1], s[2:3], 3
	s_add_u32 s0, s6, s0
	s_addc_u32 s1, s7, s1
	s_load_dwordx2 s[0:1], s[0:1], 0x28
	s_waitcnt lgkmcnt(0)
	s_sub_u32 s0, s0, s18
	s_subb_u32 s1, s1, 0
	v_lshl_add_u64 v[2:3], s[10:11], 0, v[0:1]
	v_cmp_gt_i64_e32 vcc, s[0:1], v[2:3]
	s_and_saveexec_b64 s[10:11], vcc
	s_cbranch_execz .LBB11_66
.LBB11_64:
	s_add_i32 s3, s14, s18
	v_lshl_add_u64 v[4:5], v[2:3], 2, s[8:9]
	s_mov_b64 s[12:13], 0
	v_mov_b32_e32 v7, s3
	s_mov_b64 s[14:15], 0x100
	s_mov_b64 s[16:17], 0x400
.LBB11_65:                              ; =>This Inner Loop Header: Depth=1
	v_lshl_add_u64 v[2:3], v[2:3], 0, s[14:15]
	v_cmp_le_i64_e32 vcc, s[0:1], v[2:3]
	global_store_dword v[4:5], v7, off
	s_or_b64 s[12:13], vcc, s[12:13]
	v_lshl_add_u64 v[4:5], v[4:5], 0, s[16:17]
	s_andn2_b64 exec, exec, s[12:13]
	s_cbranch_execnz .LBB11_65
.LBB11_66:
	s_or_b64 exec, exec, s[10:11]
	ds_read_b32 v2, v6 offset:24
	s_waitcnt lgkmcnt(0)
	v_cmp_ne_u32_e32 vcc, 0, v2
	s_cbranch_vccnz .LBB11_75
.LBB11_67:
	s_or_b32 s14, s2, 6
	s_cmp_lt_i32 s14, s19
	s_mov_b64 s[0:1], 0
	s_cselect_b64 s[12:13], -1, 0
	s_cmp_ge_i32 s14, s19
	s_mov_b64 s[10:11], 0
	s_cbranch_scc0 .LBB11_70
; %bb.68:
	s_andn2_b64 vcc, exec, s[12:13]
	s_cbranch_vccz .LBB11_71
.LBB11_69:
	v_lshl_add_u64 v[2:3], s[10:11], 0, v[0:1]
	v_cmp_gt_i64_e32 vcc, s[0:1], v[2:3]
	s_and_saveexec_b64 s[10:11], vcc
	s_cbranch_execnz .LBB11_72
	s_branch .LBB11_74
.LBB11_70:
	s_ashr_i32 s3, s2, 31
	s_lshl_b64 s[10:11], s[2:3], 3
	s_add_u32 s10, s4, s10
	s_addc_u32 s11, s5, s11
	s_load_dwordx2 s[10:11], s[10:11], 0x30
	s_waitcnt lgkmcnt(0)
	s_sub_u32 s10, s10, s18
	s_subb_u32 s11, s11, 0
	s_andn2_b64 vcc, exec, s[12:13]
	s_cbranch_vccnz .LBB11_69
.LBB11_71:
	s_ashr_i32 s3, s2, 31
	s_lshl_b64 s[0:1], s[2:3], 3
	s_add_u32 s0, s6, s0
	s_addc_u32 s1, s7, s1
	s_load_dwordx2 s[0:1], s[0:1], 0x30
	s_waitcnt lgkmcnt(0)
	s_sub_u32 s0, s0, s18
	s_subb_u32 s1, s1, 0
	v_lshl_add_u64 v[2:3], s[10:11], 0, v[0:1]
	v_cmp_gt_i64_e32 vcc, s[0:1], v[2:3]
	s_and_saveexec_b64 s[10:11], vcc
	s_cbranch_execz .LBB11_74
.LBB11_72:
	s_add_i32 s3, s14, s18
	v_lshl_add_u64 v[4:5], v[2:3], 2, s[8:9]
	s_mov_b64 s[12:13], 0
	v_mov_b32_e32 v6, s3
	s_mov_b64 s[14:15], 0x100
	s_mov_b64 s[16:17], 0x400
.LBB11_73:                              ; =>This Inner Loop Header: Depth=1
	v_lshl_add_u64 v[2:3], v[2:3], 0, s[14:15]
	v_cmp_le_i64_e32 vcc, s[0:1], v[2:3]
	global_store_dword v[4:5], v6, off
	s_or_b64 s[12:13], vcc, s[12:13]
	v_lshl_add_u64 v[4:5], v[4:5], 0, s[16:17]
	s_andn2_b64 exec, exec, s[12:13]
	s_cbranch_execnz .LBB11_73
.LBB11_74:
	s_or_b64 exec, exec, s[10:11]
.LBB11_75:
	v_mov_b32_e32 v6, 0
	ds_read_b32 v2, v6 offset:28
	s_waitcnt lgkmcnt(0)
	v_cmp_ne_u32_e32 vcc, 0, v2
	s_cbranch_vccz .LBB11_77
; %bb.76:
	ds_read_b32 v2, v6 offset:32
	s_waitcnt lgkmcnt(0)
	v_cmp_ne_u32_e32 vcc, 0, v2
	s_cbranch_vccnz .LBB11_93
	s_branch .LBB11_85
.LBB11_77:
	s_or_b32 s14, s2, 7
	s_cmp_lt_i32 s14, s19
	s_mov_b64 s[0:1], 0
	s_cselect_b64 s[12:13], -1, 0
	s_cmp_ge_i32 s14, s19
	s_mov_b64 s[10:11], 0
	s_cbranch_scc0 .LBB11_80
; %bb.78:
	s_andn2_b64 vcc, exec, s[12:13]
	s_cbranch_vccz .LBB11_81
.LBB11_79:
	v_lshl_add_u64 v[2:3], s[10:11], 0, v[0:1]
	v_cmp_gt_i64_e32 vcc, s[0:1], v[2:3]
	s_and_saveexec_b64 s[10:11], vcc
	s_cbranch_execnz .LBB11_82
	s_branch .LBB11_84
.LBB11_80:
	s_ashr_i32 s3, s2, 31
	s_lshl_b64 s[10:11], s[2:3], 3
	s_add_u32 s10, s4, s10
	s_addc_u32 s11, s5, s11
	s_load_dwordx2 s[10:11], s[10:11], 0x38
	s_waitcnt lgkmcnt(0)
	s_sub_u32 s10, s10, s18
	s_subb_u32 s11, s11, 0
	s_andn2_b64 vcc, exec, s[12:13]
	s_cbranch_vccnz .LBB11_79
.LBB11_81:
	s_ashr_i32 s3, s2, 31
	s_lshl_b64 s[0:1], s[2:3], 3
	s_add_u32 s0, s6, s0
	s_addc_u32 s1, s7, s1
	s_load_dwordx2 s[0:1], s[0:1], 0x38
	s_waitcnt lgkmcnt(0)
	s_sub_u32 s0, s0, s18
	s_subb_u32 s1, s1, 0
	v_lshl_add_u64 v[2:3], s[10:11], 0, v[0:1]
	v_cmp_gt_i64_e32 vcc, s[0:1], v[2:3]
	s_and_saveexec_b64 s[10:11], vcc
	s_cbranch_execz .LBB11_84
.LBB11_82:
	s_add_i32 s3, s14, s18
	v_lshl_add_u64 v[4:5], v[2:3], 2, s[8:9]
	s_mov_b64 s[12:13], 0
	v_mov_b32_e32 v7, s3
	s_mov_b64 s[14:15], 0x100
	s_mov_b64 s[16:17], 0x400
.LBB11_83:                              ; =>This Inner Loop Header: Depth=1
	v_lshl_add_u64 v[2:3], v[2:3], 0, s[14:15]
	v_cmp_le_i64_e32 vcc, s[0:1], v[2:3]
	global_store_dword v[4:5], v7, off
	s_or_b64 s[12:13], vcc, s[12:13]
	v_lshl_add_u64 v[4:5], v[4:5], 0, s[16:17]
	s_andn2_b64 exec, exec, s[12:13]
	s_cbranch_execnz .LBB11_83
.LBB11_84:
	s_or_b64 exec, exec, s[10:11]
	ds_read_b32 v2, v6 offset:32
	s_waitcnt lgkmcnt(0)
	v_cmp_ne_u32_e32 vcc, 0, v2
	s_cbranch_vccnz .LBB11_93
.LBB11_85:
	s_or_b32 s14, s2, 8
	s_cmp_lt_i32 s14, s19
	s_mov_b64 s[0:1], 0
	s_cselect_b64 s[12:13], -1, 0
	s_cmp_ge_i32 s14, s19
	s_mov_b64 s[10:11], 0
	s_cbranch_scc0 .LBB11_88
; %bb.86:
	s_andn2_b64 vcc, exec, s[12:13]
	s_cbranch_vccz .LBB11_89
.LBB11_87:
	v_lshl_add_u64 v[2:3], s[10:11], 0, v[0:1]
	v_cmp_gt_i64_e32 vcc, s[0:1], v[2:3]
	s_and_saveexec_b64 s[10:11], vcc
	s_cbranch_execnz .LBB11_90
	s_branch .LBB11_92
.LBB11_88:
	s_ashr_i32 s3, s2, 31
	s_lshl_b64 s[10:11], s[2:3], 3
	s_add_u32 s10, s4, s10
	s_addc_u32 s11, s5, s11
	s_load_dwordx2 s[10:11], s[10:11], 0x40
	s_waitcnt lgkmcnt(0)
	s_sub_u32 s10, s10, s18
	s_subb_u32 s11, s11, 0
	s_andn2_b64 vcc, exec, s[12:13]
	s_cbranch_vccnz .LBB11_87
.LBB11_89:
	s_ashr_i32 s3, s2, 31
	s_lshl_b64 s[0:1], s[2:3], 3
	s_add_u32 s0, s6, s0
	s_addc_u32 s1, s7, s1
	s_load_dwordx2 s[0:1], s[0:1], 0x40
	s_waitcnt lgkmcnt(0)
	s_sub_u32 s0, s0, s18
	s_subb_u32 s1, s1, 0
	v_lshl_add_u64 v[2:3], s[10:11], 0, v[0:1]
	v_cmp_gt_i64_e32 vcc, s[0:1], v[2:3]
	s_and_saveexec_b64 s[10:11], vcc
	s_cbranch_execz .LBB11_92
.LBB11_90:
	s_add_i32 s3, s14, s18
	v_lshl_add_u64 v[4:5], v[2:3], 2, s[8:9]
	s_mov_b64 s[12:13], 0
	v_mov_b32_e32 v6, s3
	s_mov_b64 s[14:15], 0x100
	s_mov_b64 s[16:17], 0x400
.LBB11_91:                              ; =>This Inner Loop Header: Depth=1
	v_lshl_add_u64 v[2:3], v[2:3], 0, s[14:15]
	v_cmp_le_i64_e32 vcc, s[0:1], v[2:3]
	global_store_dword v[4:5], v6, off
	s_or_b64 s[12:13], vcc, s[12:13]
	v_lshl_add_u64 v[4:5], v[4:5], 0, s[16:17]
	s_andn2_b64 exec, exec, s[12:13]
	s_cbranch_execnz .LBB11_91
.LBB11_92:
	s_or_b64 exec, exec, s[10:11]
.LBB11_93:
	v_mov_b32_e32 v6, 0
	ds_read_b32 v2, v6 offset:36
	s_waitcnt lgkmcnt(0)
	v_cmp_ne_u32_e32 vcc, 0, v2
	s_cbranch_vccz .LBB11_95
; %bb.94:
	ds_read_b32 v2, v6 offset:40
	s_waitcnt lgkmcnt(0)
	v_cmp_ne_u32_e32 vcc, 0, v2
	s_cbranch_vccnz .LBB11_111
	s_branch .LBB11_103
.LBB11_95:
	s_or_b32 s14, s2, 9
	s_cmp_lt_i32 s14, s19
	s_mov_b64 s[0:1], 0
	s_cselect_b64 s[12:13], -1, 0
	s_cmp_ge_i32 s14, s19
	s_mov_b64 s[10:11], 0
	s_cbranch_scc0 .LBB11_98
; %bb.96:
	s_andn2_b64 vcc, exec, s[12:13]
	s_cbranch_vccz .LBB11_99
.LBB11_97:
	v_lshl_add_u64 v[2:3], s[10:11], 0, v[0:1]
	v_cmp_gt_i64_e32 vcc, s[0:1], v[2:3]
	s_and_saveexec_b64 s[10:11], vcc
	s_cbranch_execnz .LBB11_100
	s_branch .LBB11_102
.LBB11_98:
	s_ashr_i32 s3, s2, 31
	s_lshl_b64 s[10:11], s[2:3], 3
	s_add_u32 s10, s4, s10
	s_addc_u32 s11, s5, s11
	s_load_dwordx2 s[10:11], s[10:11], 0x48
	s_waitcnt lgkmcnt(0)
	s_sub_u32 s10, s10, s18
	s_subb_u32 s11, s11, 0
	s_andn2_b64 vcc, exec, s[12:13]
	s_cbranch_vccnz .LBB11_97
.LBB11_99:
	s_ashr_i32 s3, s2, 31
	s_lshl_b64 s[0:1], s[2:3], 3
	s_add_u32 s0, s6, s0
	s_addc_u32 s1, s7, s1
	s_load_dwordx2 s[0:1], s[0:1], 0x48
	s_waitcnt lgkmcnt(0)
	s_sub_u32 s0, s0, s18
	s_subb_u32 s1, s1, 0
	v_lshl_add_u64 v[2:3], s[10:11], 0, v[0:1]
	v_cmp_gt_i64_e32 vcc, s[0:1], v[2:3]
	s_and_saveexec_b64 s[10:11], vcc
	s_cbranch_execz .LBB11_102
.LBB11_100:
	s_add_i32 s3, s14, s18
	v_lshl_add_u64 v[4:5], v[2:3], 2, s[8:9]
	s_mov_b64 s[12:13], 0
	v_mov_b32_e32 v7, s3
	s_mov_b64 s[14:15], 0x100
	s_mov_b64 s[16:17], 0x400
.LBB11_101:                             ; =>This Inner Loop Header: Depth=1
	v_lshl_add_u64 v[2:3], v[2:3], 0, s[14:15]
	v_cmp_le_i64_e32 vcc, s[0:1], v[2:3]
	global_store_dword v[4:5], v7, off
	s_or_b64 s[12:13], vcc, s[12:13]
	v_lshl_add_u64 v[4:5], v[4:5], 0, s[16:17]
	s_andn2_b64 exec, exec, s[12:13]
	s_cbranch_execnz .LBB11_101
.LBB11_102:
	s_or_b64 exec, exec, s[10:11]
	ds_read_b32 v2, v6 offset:40
	s_waitcnt lgkmcnt(0)
	v_cmp_ne_u32_e32 vcc, 0, v2
	s_cbranch_vccnz .LBB11_111
.LBB11_103:
	s_or_b32 s14, s2, 10
	s_cmp_lt_i32 s14, s19
	s_mov_b64 s[0:1], 0
	s_cselect_b64 s[12:13], -1, 0
	s_cmp_ge_i32 s14, s19
	s_mov_b64 s[10:11], 0
	s_cbranch_scc0 .LBB11_106
; %bb.104:
	s_andn2_b64 vcc, exec, s[12:13]
	s_cbranch_vccz .LBB11_107
.LBB11_105:
	v_lshl_add_u64 v[2:3], s[10:11], 0, v[0:1]
	v_cmp_gt_i64_e32 vcc, s[0:1], v[2:3]
	s_and_saveexec_b64 s[10:11], vcc
	s_cbranch_execnz .LBB11_108
	s_branch .LBB11_110
.LBB11_106:
	s_ashr_i32 s3, s2, 31
	s_lshl_b64 s[10:11], s[2:3], 3
	s_add_u32 s10, s4, s10
	s_addc_u32 s11, s5, s11
	s_load_dwordx2 s[10:11], s[10:11], 0x50
	s_waitcnt lgkmcnt(0)
	s_sub_u32 s10, s10, s18
	s_subb_u32 s11, s11, 0
	s_andn2_b64 vcc, exec, s[12:13]
	s_cbranch_vccnz .LBB11_105
.LBB11_107:
	s_ashr_i32 s3, s2, 31
	s_lshl_b64 s[0:1], s[2:3], 3
	s_add_u32 s0, s6, s0
	s_addc_u32 s1, s7, s1
	s_load_dwordx2 s[0:1], s[0:1], 0x50
	s_waitcnt lgkmcnt(0)
	s_sub_u32 s0, s0, s18
	s_subb_u32 s1, s1, 0
	v_lshl_add_u64 v[2:3], s[10:11], 0, v[0:1]
	v_cmp_gt_i64_e32 vcc, s[0:1], v[2:3]
	s_and_saveexec_b64 s[10:11], vcc
	s_cbranch_execz .LBB11_110
.LBB11_108:
	s_add_i32 s3, s14, s18
	v_lshl_add_u64 v[4:5], v[2:3], 2, s[8:9]
	s_mov_b64 s[12:13], 0
	v_mov_b32_e32 v6, s3
	s_mov_b64 s[14:15], 0x100
	s_mov_b64 s[16:17], 0x400
.LBB11_109:                             ; =>This Inner Loop Header: Depth=1
	v_lshl_add_u64 v[2:3], v[2:3], 0, s[14:15]
	v_cmp_le_i64_e32 vcc, s[0:1], v[2:3]
	global_store_dword v[4:5], v6, off
	s_or_b64 s[12:13], vcc, s[12:13]
	v_lshl_add_u64 v[4:5], v[4:5], 0, s[16:17]
	s_andn2_b64 exec, exec, s[12:13]
	s_cbranch_execnz .LBB11_109
.LBB11_110:
	s_or_b64 exec, exec, s[10:11]
.LBB11_111:
	v_mov_b32_e32 v6, 0
	ds_read_b32 v2, v6 offset:44
	s_waitcnt lgkmcnt(0)
	v_cmp_ne_u32_e32 vcc, 0, v2
	s_cbranch_vccz .LBB11_113
; %bb.112:
	ds_read_b32 v2, v6 offset:48
	s_waitcnt lgkmcnt(0)
	v_cmp_ne_u32_e32 vcc, 0, v2
	s_cbranch_vccnz .LBB11_129
	s_branch .LBB11_121
.LBB11_113:
	s_or_b32 s14, s2, 11
	s_cmp_lt_i32 s14, s19
	s_mov_b64 s[0:1], 0
	s_cselect_b64 s[12:13], -1, 0
	s_cmp_ge_i32 s14, s19
	s_mov_b64 s[10:11], 0
	s_cbranch_scc0 .LBB11_116
; %bb.114:
	s_andn2_b64 vcc, exec, s[12:13]
	s_cbranch_vccz .LBB11_117
.LBB11_115:
	v_lshl_add_u64 v[2:3], s[10:11], 0, v[0:1]
	v_cmp_gt_i64_e32 vcc, s[0:1], v[2:3]
	s_and_saveexec_b64 s[10:11], vcc
	s_cbranch_execnz .LBB11_118
	s_branch .LBB11_120
.LBB11_116:
	s_ashr_i32 s3, s2, 31
	s_lshl_b64 s[10:11], s[2:3], 3
	s_add_u32 s10, s4, s10
	s_addc_u32 s11, s5, s11
	s_load_dwordx2 s[10:11], s[10:11], 0x58
	s_waitcnt lgkmcnt(0)
	s_sub_u32 s10, s10, s18
	s_subb_u32 s11, s11, 0
	s_andn2_b64 vcc, exec, s[12:13]
	s_cbranch_vccnz .LBB11_115
.LBB11_117:
	s_ashr_i32 s3, s2, 31
	s_lshl_b64 s[0:1], s[2:3], 3
	s_add_u32 s0, s6, s0
	s_addc_u32 s1, s7, s1
	s_load_dwordx2 s[0:1], s[0:1], 0x58
	s_waitcnt lgkmcnt(0)
	s_sub_u32 s0, s0, s18
	s_subb_u32 s1, s1, 0
	v_lshl_add_u64 v[2:3], s[10:11], 0, v[0:1]
	v_cmp_gt_i64_e32 vcc, s[0:1], v[2:3]
	s_and_saveexec_b64 s[10:11], vcc
	s_cbranch_execz .LBB11_120
.LBB11_118:
	s_add_i32 s3, s14, s18
	v_lshl_add_u64 v[4:5], v[2:3], 2, s[8:9]
	s_mov_b64 s[12:13], 0
	v_mov_b32_e32 v7, s3
	s_mov_b64 s[14:15], 0x100
	s_mov_b64 s[16:17], 0x400
.LBB11_119:                             ; =>This Inner Loop Header: Depth=1
	v_lshl_add_u64 v[2:3], v[2:3], 0, s[14:15]
	v_cmp_le_i64_e32 vcc, s[0:1], v[2:3]
	global_store_dword v[4:5], v7, off
	s_or_b64 s[12:13], vcc, s[12:13]
	v_lshl_add_u64 v[4:5], v[4:5], 0, s[16:17]
	s_andn2_b64 exec, exec, s[12:13]
	s_cbranch_execnz .LBB11_119
.LBB11_120:
	s_or_b64 exec, exec, s[10:11]
	ds_read_b32 v2, v6 offset:48
	s_waitcnt lgkmcnt(0)
	v_cmp_ne_u32_e32 vcc, 0, v2
	s_cbranch_vccnz .LBB11_129
.LBB11_121:
	s_or_b32 s14, s2, 12
	s_cmp_lt_i32 s14, s19
	s_mov_b64 s[0:1], 0
	s_cselect_b64 s[12:13], -1, 0
	s_cmp_ge_i32 s14, s19
	s_mov_b64 s[10:11], 0
	s_cbranch_scc0 .LBB11_124
; %bb.122:
	s_andn2_b64 vcc, exec, s[12:13]
	s_cbranch_vccz .LBB11_125
.LBB11_123:
	v_lshl_add_u64 v[2:3], s[10:11], 0, v[0:1]
	v_cmp_gt_i64_e32 vcc, s[0:1], v[2:3]
	s_and_saveexec_b64 s[10:11], vcc
	s_cbranch_execnz .LBB11_126
	s_branch .LBB11_128
.LBB11_124:
	s_ashr_i32 s3, s2, 31
	s_lshl_b64 s[10:11], s[2:3], 3
	s_add_u32 s10, s4, s10
	s_addc_u32 s11, s5, s11
	s_load_dwordx2 s[10:11], s[10:11], 0x60
	s_waitcnt lgkmcnt(0)
	s_sub_u32 s10, s10, s18
	s_subb_u32 s11, s11, 0
	s_andn2_b64 vcc, exec, s[12:13]
	s_cbranch_vccnz .LBB11_123
.LBB11_125:
	s_ashr_i32 s3, s2, 31
	s_lshl_b64 s[0:1], s[2:3], 3
	s_add_u32 s0, s6, s0
	s_addc_u32 s1, s7, s1
	s_load_dwordx2 s[0:1], s[0:1], 0x60
	s_waitcnt lgkmcnt(0)
	s_sub_u32 s0, s0, s18
	s_subb_u32 s1, s1, 0
	v_lshl_add_u64 v[2:3], s[10:11], 0, v[0:1]
	v_cmp_gt_i64_e32 vcc, s[0:1], v[2:3]
	s_and_saveexec_b64 s[10:11], vcc
	s_cbranch_execz .LBB11_128
.LBB11_126:
	s_add_i32 s3, s14, s18
	v_lshl_add_u64 v[4:5], v[2:3], 2, s[8:9]
	s_mov_b64 s[12:13], 0
	v_mov_b32_e32 v6, s3
	s_mov_b64 s[14:15], 0x100
	s_mov_b64 s[16:17], 0x400
.LBB11_127:                             ; =>This Inner Loop Header: Depth=1
	v_lshl_add_u64 v[2:3], v[2:3], 0, s[14:15]
	v_cmp_le_i64_e32 vcc, s[0:1], v[2:3]
	global_store_dword v[4:5], v6, off
	s_or_b64 s[12:13], vcc, s[12:13]
	v_lshl_add_u64 v[4:5], v[4:5], 0, s[16:17]
	s_andn2_b64 exec, exec, s[12:13]
	s_cbranch_execnz .LBB11_127
.LBB11_128:
	s_or_b64 exec, exec, s[10:11]
.LBB11_129:
	v_mov_b32_e32 v6, 0
	ds_read_b32 v2, v6 offset:52
	s_waitcnt lgkmcnt(0)
	v_cmp_ne_u32_e32 vcc, 0, v2
	s_cbranch_vccz .LBB11_131
; %bb.130:
	ds_read_b32 v2, v6 offset:56
	s_waitcnt lgkmcnt(0)
	v_cmp_ne_u32_e32 vcc, 0, v2
	s_cbranch_vccnz .LBB11_147
	s_branch .LBB11_139
.LBB11_131:
	s_or_b32 s14, s2, 13
	s_cmp_lt_i32 s14, s19
	s_mov_b64 s[0:1], 0
	s_cselect_b64 s[12:13], -1, 0
	s_cmp_ge_i32 s14, s19
	s_mov_b64 s[10:11], 0
	s_cbranch_scc0 .LBB11_134
; %bb.132:
	s_andn2_b64 vcc, exec, s[12:13]
	s_cbranch_vccz .LBB11_135
.LBB11_133:
	v_lshl_add_u64 v[2:3], s[10:11], 0, v[0:1]
	v_cmp_gt_i64_e32 vcc, s[0:1], v[2:3]
	s_and_saveexec_b64 s[10:11], vcc
	s_cbranch_execnz .LBB11_136
	s_branch .LBB11_138
.LBB11_134:
	s_ashr_i32 s3, s2, 31
	s_lshl_b64 s[10:11], s[2:3], 3
	s_add_u32 s10, s4, s10
	s_addc_u32 s11, s5, s11
	s_load_dwordx2 s[10:11], s[10:11], 0x68
	s_waitcnt lgkmcnt(0)
	s_sub_u32 s10, s10, s18
	s_subb_u32 s11, s11, 0
	s_andn2_b64 vcc, exec, s[12:13]
	s_cbranch_vccnz .LBB11_133
.LBB11_135:
	s_ashr_i32 s3, s2, 31
	s_lshl_b64 s[0:1], s[2:3], 3
	s_add_u32 s0, s6, s0
	s_addc_u32 s1, s7, s1
	s_load_dwordx2 s[0:1], s[0:1], 0x68
	s_waitcnt lgkmcnt(0)
	s_sub_u32 s0, s0, s18
	s_subb_u32 s1, s1, 0
	v_lshl_add_u64 v[2:3], s[10:11], 0, v[0:1]
	v_cmp_gt_i64_e32 vcc, s[0:1], v[2:3]
	s_and_saveexec_b64 s[10:11], vcc
	s_cbranch_execz .LBB11_138
.LBB11_136:
	s_add_i32 s3, s14, s18
	v_lshl_add_u64 v[4:5], v[2:3], 2, s[8:9]
	s_mov_b64 s[12:13], 0
	v_mov_b32_e32 v7, s3
	s_mov_b64 s[14:15], 0x100
	s_mov_b64 s[16:17], 0x400
.LBB11_137:                             ; =>This Inner Loop Header: Depth=1
	v_lshl_add_u64 v[2:3], v[2:3], 0, s[14:15]
	v_cmp_le_i64_e32 vcc, s[0:1], v[2:3]
	global_store_dword v[4:5], v7, off
	s_or_b64 s[12:13], vcc, s[12:13]
	v_lshl_add_u64 v[4:5], v[4:5], 0, s[16:17]
	s_andn2_b64 exec, exec, s[12:13]
	s_cbranch_execnz .LBB11_137
.LBB11_138:
	s_or_b64 exec, exec, s[10:11]
	ds_read_b32 v2, v6 offset:56
	s_waitcnt lgkmcnt(0)
	v_cmp_ne_u32_e32 vcc, 0, v2
	s_cbranch_vccnz .LBB11_147
.LBB11_139:
	s_or_b32 s14, s2, 14
	s_cmp_lt_i32 s14, s19
	s_mov_b64 s[0:1], 0
	s_cselect_b64 s[12:13], -1, 0
	s_cmp_ge_i32 s14, s19
	s_mov_b64 s[10:11], 0
	s_cbranch_scc0 .LBB11_142
; %bb.140:
	s_andn2_b64 vcc, exec, s[12:13]
	s_cbranch_vccz .LBB11_143
.LBB11_141:
	v_lshl_add_u64 v[2:3], s[10:11], 0, v[0:1]
	v_cmp_gt_i64_e32 vcc, s[0:1], v[2:3]
	s_and_saveexec_b64 s[10:11], vcc
	s_cbranch_execnz .LBB11_144
	s_branch .LBB11_146
.LBB11_142:
	s_ashr_i32 s3, s2, 31
	s_lshl_b64 s[10:11], s[2:3], 3
	s_add_u32 s10, s4, s10
	s_addc_u32 s11, s5, s11
	s_load_dwordx2 s[10:11], s[10:11], 0x70
	s_waitcnt lgkmcnt(0)
	s_sub_u32 s10, s10, s18
	s_subb_u32 s11, s11, 0
	s_andn2_b64 vcc, exec, s[12:13]
	s_cbranch_vccnz .LBB11_141
.LBB11_143:
	s_ashr_i32 s3, s2, 31
	s_lshl_b64 s[0:1], s[2:3], 3
	s_add_u32 s0, s6, s0
	s_addc_u32 s1, s7, s1
	s_load_dwordx2 s[0:1], s[0:1], 0x70
	s_waitcnt lgkmcnt(0)
	s_sub_u32 s0, s0, s18
	s_subb_u32 s1, s1, 0
	v_lshl_add_u64 v[2:3], s[10:11], 0, v[0:1]
	v_cmp_gt_i64_e32 vcc, s[0:1], v[2:3]
	s_and_saveexec_b64 s[10:11], vcc
	s_cbranch_execz .LBB11_146
.LBB11_144:
	s_add_i32 s3, s14, s18
	v_lshl_add_u64 v[4:5], v[2:3], 2, s[8:9]
	s_mov_b64 s[12:13], 0
	v_mov_b32_e32 v6, s3
	s_mov_b64 s[14:15], 0x100
	s_mov_b64 s[16:17], 0x400
.LBB11_145:                             ; =>This Inner Loop Header: Depth=1
	v_lshl_add_u64 v[2:3], v[2:3], 0, s[14:15]
	v_cmp_le_i64_e32 vcc, s[0:1], v[2:3]
	global_store_dword v[4:5], v6, off
	s_or_b64 s[12:13], vcc, s[12:13]
	v_lshl_add_u64 v[4:5], v[4:5], 0, s[16:17]
	s_andn2_b64 exec, exec, s[12:13]
	s_cbranch_execnz .LBB11_145
.LBB11_146:
	s_or_b64 exec, exec, s[10:11]
.LBB11_147:
	v_mov_b32_e32 v2, 0
	ds_read_b32 v2, v2 offset:60
	s_waitcnt lgkmcnt(0)
	v_cmp_ne_u32_e32 vcc, 0, v2
	s_cbranch_vccnz .LBB11_155
; %bb.148:
	s_or_b32 s14, s2, 15
	s_cmp_lt_i32 s14, s19
	s_mov_b64 s[0:1], 0
	s_cselect_b64 s[12:13], -1, 0
	s_cmp_ge_i32 s14, s19
	s_mov_b64 s[10:11], 0
	s_cbranch_scc0 .LBB11_151
; %bb.149:
	s_andn2_b64 vcc, exec, s[12:13]
	s_cbranch_vccz .LBB11_152
.LBB11_150:
	v_lshl_add_u64 v[0:1], s[10:11], 0, v[0:1]
	v_cmp_gt_i64_e32 vcc, s[0:1], v[0:1]
	s_and_saveexec_b64 s[2:3], vcc
	s_cbranch_execnz .LBB11_153
	s_branch .LBB11_155
.LBB11_151:
	s_ashr_i32 s3, s2, 31
	s_lshl_b64 s[10:11], s[2:3], 3
	s_add_u32 s4, s4, s10
	s_addc_u32 s5, s5, s11
	s_load_dwordx2 s[4:5], s[4:5], 0x78
	s_waitcnt lgkmcnt(0)
	s_sub_u32 s10, s4, s18
	s_subb_u32 s11, s5, 0
	s_andn2_b64 vcc, exec, s[12:13]
	s_cbranch_vccnz .LBB11_150
.LBB11_152:
	s_ashr_i32 s3, s2, 31
	s_lshl_b64 s[0:1], s[2:3], 3
	s_add_u32 s0, s6, s0
	s_addc_u32 s1, s7, s1
	s_load_dwordx2 s[0:1], s[0:1], 0x78
	s_waitcnt lgkmcnt(0)
	s_sub_u32 s0, s0, s18
	s_subb_u32 s1, s1, 0
	v_lshl_add_u64 v[0:1], s[10:11], 0, v[0:1]
	v_cmp_gt_i64_e32 vcc, s[0:1], v[0:1]
	s_and_saveexec_b64 s[2:3], vcc
	s_cbranch_execz .LBB11_155
.LBB11_153:
	s_add_i32 s4, s14, s18
	v_lshl_add_u64 v[2:3], v[0:1], 2, s[8:9]
	s_mov_b64 s[2:3], 0
	v_mov_b32_e32 v4, s4
	s_mov_b64 s[4:5], 0x100
	s_mov_b64 s[6:7], 0x400
.LBB11_154:                             ; =>This Inner Loop Header: Depth=1
	v_lshl_add_u64 v[0:1], v[0:1], 0, s[4:5]
	v_cmp_le_i64_e32 vcc, s[0:1], v[0:1]
	global_store_dword v[2:3], v4, off
	s_or_b64 s[2:3], vcc, s[2:3]
	v_lshl_add_u64 v[2:3], v[2:3], 0, s[6:7]
	s_andn2_b64 exec, exec, s[2:3]
	s_cbranch_execnz .LBB11_154
.LBB11_155:
	s_endpgm
	.section	.rodata,"a",@progbits
	.p2align	6, 0x0
	.amdhsa_kernel _ZN9rocsparseL14csr2coo_kernelILj256ELj16EliEEvT2_PKT1_S4_PS1_21rocsparse_index_base_
		.amdhsa_group_segment_fixed_size 68
		.amdhsa_private_segment_fixed_size 0
		.amdhsa_kernarg_size 36
		.amdhsa_user_sgpr_count 2
		.amdhsa_user_sgpr_dispatch_ptr 0
		.amdhsa_user_sgpr_queue_ptr 0
		.amdhsa_user_sgpr_kernarg_segment_ptr 1
		.amdhsa_user_sgpr_dispatch_id 0
		.amdhsa_user_sgpr_kernarg_preload_length 0
		.amdhsa_user_sgpr_kernarg_preload_offset 0
		.amdhsa_user_sgpr_private_segment_size 0
		.amdhsa_uses_dynamic_stack 0
		.amdhsa_enable_private_segment 0
		.amdhsa_system_sgpr_workgroup_id_x 1
		.amdhsa_system_sgpr_workgroup_id_y 0
		.amdhsa_system_sgpr_workgroup_id_z 0
		.amdhsa_system_sgpr_workgroup_info 0
		.amdhsa_system_vgpr_workitem_id 0
		.amdhsa_next_free_vgpr 10
		.amdhsa_next_free_sgpr 20
		.amdhsa_accum_offset 12
		.amdhsa_reserve_vcc 1
		.amdhsa_float_round_mode_32 0
		.amdhsa_float_round_mode_16_64 0
		.amdhsa_float_denorm_mode_32 3
		.amdhsa_float_denorm_mode_16_64 3
		.amdhsa_dx10_clamp 1
		.amdhsa_ieee_mode 1
		.amdhsa_fp16_overflow 0
		.amdhsa_tg_split 0
		.amdhsa_exception_fp_ieee_invalid_op 0
		.amdhsa_exception_fp_denorm_src 0
		.amdhsa_exception_fp_ieee_div_zero 0
		.amdhsa_exception_fp_ieee_overflow 0
		.amdhsa_exception_fp_ieee_underflow 0
		.amdhsa_exception_fp_ieee_inexact 0
		.amdhsa_exception_int_div_zero 0
	.end_amdhsa_kernel
	.section	.text._ZN9rocsparseL14csr2coo_kernelILj256ELj16EliEEvT2_PKT1_S4_PS1_21rocsparse_index_base_,"axG",@progbits,_ZN9rocsparseL14csr2coo_kernelILj256ELj16EliEEvT2_PKT1_S4_PS1_21rocsparse_index_base_,comdat
.Lfunc_end11:
	.size	_ZN9rocsparseL14csr2coo_kernelILj256ELj16EliEEvT2_PKT1_S4_PS1_21rocsparse_index_base_, .Lfunc_end11-_ZN9rocsparseL14csr2coo_kernelILj256ELj16EliEEvT2_PKT1_S4_PS1_21rocsparse_index_base_
                                        ; -- End function
	.set _ZN9rocsparseL14csr2coo_kernelILj256ELj16EliEEvT2_PKT1_S4_PS1_21rocsparse_index_base_.num_vgpr, 10
	.set _ZN9rocsparseL14csr2coo_kernelILj256ELj16EliEEvT2_PKT1_S4_PS1_21rocsparse_index_base_.num_agpr, 0
	.set _ZN9rocsparseL14csr2coo_kernelILj256ELj16EliEEvT2_PKT1_S4_PS1_21rocsparse_index_base_.numbered_sgpr, 20
	.set _ZN9rocsparseL14csr2coo_kernelILj256ELj16EliEEvT2_PKT1_S4_PS1_21rocsparse_index_base_.num_named_barrier, 0
	.set _ZN9rocsparseL14csr2coo_kernelILj256ELj16EliEEvT2_PKT1_S4_PS1_21rocsparse_index_base_.private_seg_size, 0
	.set _ZN9rocsparseL14csr2coo_kernelILj256ELj16EliEEvT2_PKT1_S4_PS1_21rocsparse_index_base_.uses_vcc, 1
	.set _ZN9rocsparseL14csr2coo_kernelILj256ELj16EliEEvT2_PKT1_S4_PS1_21rocsparse_index_base_.uses_flat_scratch, 0
	.set _ZN9rocsparseL14csr2coo_kernelILj256ELj16EliEEvT2_PKT1_S4_PS1_21rocsparse_index_base_.has_dyn_sized_stack, 0
	.set _ZN9rocsparseL14csr2coo_kernelILj256ELj16EliEEvT2_PKT1_S4_PS1_21rocsparse_index_base_.has_recursion, 0
	.set _ZN9rocsparseL14csr2coo_kernelILj256ELj16EliEEvT2_PKT1_S4_PS1_21rocsparse_index_base_.has_indirect_call, 0
	.section	.AMDGPU.csdata,"",@progbits
; Kernel info:
; codeLenInByte = 4756
; TotalNumSgprs: 26
; NumVgprs: 10
; NumAgprs: 0
; TotalNumVgprs: 10
; ScratchSize: 0
; MemoryBound: 0
; FloatMode: 240
; IeeeMode: 1
; LDSByteSize: 68 bytes/workgroup (compile time only)
; SGPRBlocks: 3
; VGPRBlocks: 1
; NumSGPRsForWavesPerEU: 26
; NumVGPRsForWavesPerEU: 10
; AccumOffset: 12
; Occupancy: 8
; WaveLimiterHint : 0
; COMPUTE_PGM_RSRC2:SCRATCH_EN: 0
; COMPUTE_PGM_RSRC2:USER_SGPR: 2
; COMPUTE_PGM_RSRC2:TRAP_HANDLER: 0
; COMPUTE_PGM_RSRC2:TGID_X_EN: 1
; COMPUTE_PGM_RSRC2:TGID_Y_EN: 0
; COMPUTE_PGM_RSRC2:TGID_Z_EN: 0
; COMPUTE_PGM_RSRC2:TIDIG_COMP_CNT: 0
; COMPUTE_PGM_RSRC3_GFX90A:ACCUM_OFFSET: 2
; COMPUTE_PGM_RSRC3_GFX90A:TG_SPLIT: 0
	.section	.text._ZN9rocsparseL14csr2coo_kernelILj256ELj32EliEEvT2_PKT1_S4_PS1_21rocsparse_index_base_,"axG",@progbits,_ZN9rocsparseL14csr2coo_kernelILj256ELj32EliEEvT2_PKT1_S4_PS1_21rocsparse_index_base_,comdat
	.globl	_ZN9rocsparseL14csr2coo_kernelILj256ELj32EliEEvT2_PKT1_S4_PS1_21rocsparse_index_base_ ; -- Begin function _ZN9rocsparseL14csr2coo_kernelILj256ELj32EliEEvT2_PKT1_S4_PS1_21rocsparse_index_base_
	.p2align	8
	.type	_ZN9rocsparseL14csr2coo_kernelILj256ELj32EliEEvT2_PKT1_S4_PS1_21rocsparse_index_base_,@function
_ZN9rocsparseL14csr2coo_kernelILj256ELj32EliEEvT2_PKT1_S4_PS1_21rocsparse_index_base_: ; @_ZN9rocsparseL14csr2coo_kernelILj256ELj32EliEEvT2_PKT1_S4_PS1_21rocsparse_index_base_
; %bb.0:
	s_load_dword s19, s[0:1], 0x0
	s_load_dwordx4 s[4:7], s[0:1], 0x8
	s_load_dwordx2 s[8:9], s[0:1], 0x18
	s_load_dword s18, s[0:1], 0x20
	v_lshrrev_b32_e32 v1, 5, v0
	s_lshl_b32 s2, s2, 3
	v_mov_b32_e32 v2, 1
	v_mov_b32_e32 v3, 0
	v_or_b32_e32 v4, s2, v1
	ds_write_b32 v3, v2 offset:32
	s_waitcnt lgkmcnt(0)
	v_cmp_gt_i32_e32 vcc, s19, v4
	v_mov_b64_e32 v[2:3], 0
	v_ashrrev_i32_e32 v5, 31, v4
	v_mov_b64_e32 v[6:7], 0
	s_barrier
	s_and_saveexec_b64 s[10:11], vcc
	s_cbranch_execz .LBB12_2
; %bb.1:
	v_lshl_add_u64 v[6:7], v[4:5], 3, s[4:5]
	global_load_dwordx2 v[6:7], v[6:7], off
	s_waitcnt vmcnt(0)
	v_subrev_co_u32_e64 v6, s[0:1], s18, v6
	s_nop 1
	v_subbrev_co_u32_e64 v7, s[0:1], 0, v7, s[0:1]
.LBB12_2:
	s_or_b64 exec, exec, s[10:11]
	s_and_saveexec_b64 s[0:1], vcc
	s_cbranch_execz .LBB12_4
; %bb.3:
	v_lshl_add_u64 v[2:3], v[4:5], 3, s[6:7]
	global_load_dwordx2 v[2:3], v[2:3], off
	s_waitcnt vmcnt(0)
	v_subrev_co_u32_e32 v2, vcc, s18, v2
	s_nop 1
	v_subbrev_co_u32_e32 v3, vcc, 0, v3, vcc
.LBB12_4:
	s_or_b64 exec, exec, s[0:1]
	v_sub_co_u32_e32 v8, vcc, v2, v6
	s_mov_b64 s[0:1], 0x101
	s_nop 0
	v_subb_co_u32_e32 v9, vcc, v3, v7, vcc
	v_cmp_gt_i64_e32 vcc, s[0:1], v[8:9]
	s_mov_b64 s[0:1], 0x100
	v_cmp_lt_i64_e64 s[0:1], s[0:1], v[8:9]
	s_and_saveexec_b64 s[10:11], s[0:1]
	s_xor_b64 s[0:1], exec, s[10:11]
; %bb.5:
	v_mov_b32_e32 v2, 0
	ds_write_b32 v2, v2 offset:32
                                        ; implicit-def: $vgpr6_vgpr7
                                        ; implicit-def: $vgpr2_vgpr3
                                        ; implicit-def: $vgpr4
; %bb.6:
	s_andn2_saveexec_b64 s[10:11], s[0:1]
	s_cbranch_execz .LBB12_11
; %bb.7:
	v_and_b32_e32 v8, 31, v0
	v_mov_b32_e32 v9, 0
	v_lshl_add_u64 v[6:7], v[6:7], 0, v[8:9]
	v_cmp_lt_i64_e64 s[0:1], v[6:7], v[2:3]
	s_and_saveexec_b64 s[12:13], s[0:1]
	s_cbranch_execz .LBB12_10
; %bb.8:
	v_add_u32_e32 v8, s18, v4
	v_lshl_add_u64 v[4:5], v[6:7], 2, s[8:9]
	s_mov_b64 s[14:15], 0
	s_mov_b64 s[16:17], 0x80
.LBB12_9:                               ; =>This Inner Loop Header: Depth=1
	v_lshl_add_u64 v[6:7], v[6:7], 0, 32
	v_cmp_ge_i64_e64 s[0:1], v[6:7], v[2:3]
	global_store_dword v[4:5], v8, off
	s_or_b64 s[14:15], s[0:1], s[14:15]
	v_lshl_add_u64 v[4:5], v[4:5], 0, s[16:17]
	s_andn2_b64 exec, exec, s[14:15]
	s_cbranch_execnz .LBB12_9
.LBB12_10:
	s_or_b64 exec, exec, s[12:13]
.LBB12_11:
	s_or_b64 exec, exec, s[10:11]
	v_cndmask_b32_e64 v2, 0, 1, vcc
	v_lshlrev_b32_e32 v1, 2, v1
	ds_write_b32 v1, v2
	v_mov_b32_e32 v1, 0
	s_waitcnt lgkmcnt(0)
	s_barrier
	ds_read_b32 v2, v1 offset:32
	s_waitcnt lgkmcnt(0)
	v_cmp_ne_u32_e32 vcc, 0, v2
	s_cbranch_vccnz .LBB12_83
; %bb.12:
	ds_read_b32 v2, v1
	s_waitcnt lgkmcnt(0)
	v_cmp_ne_u32_e32 vcc, 0, v2
	s_cbranch_vccnz .LBB12_21
; %bb.13:
	s_cmp_lt_i32 s2, s19
	s_mov_b64 s[0:1], 0
	s_cselect_b64 s[12:13], -1, 0
	s_cmp_ge_i32 s2, s19
	s_mov_b64 s[10:11], 0
	s_cbranch_scc0 .LBB12_16
; %bb.14:
	s_andn2_b64 vcc, exec, s[12:13]
	s_cbranch_vccz .LBB12_17
.LBB12_15:
	v_lshl_add_u64 v[2:3], s[10:11], 0, v[0:1]
	v_cmp_gt_i64_e32 vcc, s[0:1], v[2:3]
	s_and_saveexec_b64 s[10:11], vcc
	s_cbranch_execnz .LBB12_18
	s_branch .LBB12_20
.LBB12_16:
	s_ashr_i32 s3, s2, 31
	s_lshl_b64 s[10:11], s[2:3], 3
	s_add_u32 s10, s4, s10
	s_addc_u32 s11, s5, s11
	s_load_dwordx2 s[10:11], s[10:11], 0x0
	s_waitcnt lgkmcnt(0)
	s_sub_u32 s10, s10, s18
	s_subb_u32 s11, s11, 0
	s_andn2_b64 vcc, exec, s[12:13]
	s_cbranch_vccnz .LBB12_15
.LBB12_17:
	s_ashr_i32 s3, s2, 31
	s_lshl_b64 s[0:1], s[2:3], 3
	s_add_u32 s0, s6, s0
	s_addc_u32 s1, s7, s1
	s_load_dwordx2 s[0:1], s[0:1], 0x0
	s_waitcnt lgkmcnt(0)
	s_sub_u32 s0, s0, s18
	s_subb_u32 s1, s1, 0
	v_lshl_add_u64 v[2:3], s[10:11], 0, v[0:1]
	v_cmp_gt_i64_e32 vcc, s[0:1], v[2:3]
	s_and_saveexec_b64 s[10:11], vcc
	s_cbranch_execz .LBB12_20
.LBB12_18:
	s_add_i32 s3, s2, s18
	v_lshl_add_u64 v[4:5], v[2:3], 2, s[8:9]
	s_mov_b64 s[12:13], 0
	v_mov_b32_e32 v6, s3
	s_mov_b64 s[14:15], 0x100
	s_mov_b64 s[16:17], 0x400
.LBB12_19:                              ; =>This Inner Loop Header: Depth=1
	v_lshl_add_u64 v[2:3], v[2:3], 0, s[14:15]
	v_cmp_le_i64_e32 vcc, s[0:1], v[2:3]
	global_store_dword v[4:5], v6, off
	s_or_b64 s[12:13], vcc, s[12:13]
	v_lshl_add_u64 v[4:5], v[4:5], 0, s[16:17]
	s_andn2_b64 exec, exec, s[12:13]
	s_cbranch_execnz .LBB12_19
.LBB12_20:
	s_or_b64 exec, exec, s[10:11]
.LBB12_21:
	v_mov_b32_e32 v6, 0
	ds_read_b32 v2, v6 offset:4
	s_waitcnt lgkmcnt(0)
	v_cmp_ne_u32_e32 vcc, 0, v2
	s_cbranch_vccz .LBB12_23
; %bb.22:
	ds_read_b32 v2, v6 offset:8
	s_waitcnt lgkmcnt(0)
	v_cmp_ne_u32_e32 vcc, 0, v2
	s_cbranch_vccnz .LBB12_39
	s_branch .LBB12_31
.LBB12_23:
	s_or_b32 s14, s2, 1
	s_cmp_lt_i32 s14, s19
	s_mov_b64 s[0:1], 0
	s_cselect_b64 s[12:13], -1, 0
	s_cmp_ge_i32 s14, s19
	s_mov_b64 s[10:11], 0
	s_cbranch_scc0 .LBB12_26
; %bb.24:
	s_andn2_b64 vcc, exec, s[12:13]
	s_cbranch_vccz .LBB12_27
.LBB12_25:
	v_lshl_add_u64 v[2:3], s[10:11], 0, v[0:1]
	v_cmp_gt_i64_e32 vcc, s[0:1], v[2:3]
	s_and_saveexec_b64 s[10:11], vcc
	s_cbranch_execnz .LBB12_28
	s_branch .LBB12_30
.LBB12_26:
	s_ashr_i32 s3, s2, 31
	s_lshl_b64 s[10:11], s[2:3], 3
	s_add_u32 s10, s4, s10
	s_addc_u32 s11, s5, s11
	s_load_dwordx2 s[10:11], s[10:11], 0x8
	s_waitcnt lgkmcnt(0)
	s_sub_u32 s10, s10, s18
	s_subb_u32 s11, s11, 0
	s_andn2_b64 vcc, exec, s[12:13]
	s_cbranch_vccnz .LBB12_25
.LBB12_27:
	s_ashr_i32 s3, s2, 31
	s_lshl_b64 s[0:1], s[2:3], 3
	s_add_u32 s0, s6, s0
	s_addc_u32 s1, s7, s1
	s_load_dwordx2 s[0:1], s[0:1], 0x8
	s_waitcnt lgkmcnt(0)
	s_sub_u32 s0, s0, s18
	s_subb_u32 s1, s1, 0
	v_lshl_add_u64 v[2:3], s[10:11], 0, v[0:1]
	v_cmp_gt_i64_e32 vcc, s[0:1], v[2:3]
	s_and_saveexec_b64 s[10:11], vcc
	s_cbranch_execz .LBB12_30
.LBB12_28:
	s_add_i32 s3, s14, s18
	v_lshl_add_u64 v[4:5], v[2:3], 2, s[8:9]
	s_mov_b64 s[12:13], 0
	v_mov_b32_e32 v7, s3
	s_mov_b64 s[14:15], 0x100
	s_mov_b64 s[16:17], 0x400
.LBB12_29:                              ; =>This Inner Loop Header: Depth=1
	v_lshl_add_u64 v[2:3], v[2:3], 0, s[14:15]
	v_cmp_le_i64_e32 vcc, s[0:1], v[2:3]
	global_store_dword v[4:5], v7, off
	s_or_b64 s[12:13], vcc, s[12:13]
	v_lshl_add_u64 v[4:5], v[4:5], 0, s[16:17]
	s_andn2_b64 exec, exec, s[12:13]
	s_cbranch_execnz .LBB12_29
.LBB12_30:
	s_or_b64 exec, exec, s[10:11]
	ds_read_b32 v2, v6 offset:8
	s_waitcnt lgkmcnt(0)
	v_cmp_ne_u32_e32 vcc, 0, v2
	s_cbranch_vccnz .LBB12_39
.LBB12_31:
	s_or_b32 s14, s2, 2
	s_cmp_lt_i32 s14, s19
	s_mov_b64 s[0:1], 0
	s_cselect_b64 s[12:13], -1, 0
	s_cmp_ge_i32 s14, s19
	s_mov_b64 s[10:11], 0
	s_cbranch_scc0 .LBB12_34
; %bb.32:
	s_andn2_b64 vcc, exec, s[12:13]
	s_cbranch_vccz .LBB12_35
.LBB12_33:
	v_lshl_add_u64 v[2:3], s[10:11], 0, v[0:1]
	v_cmp_gt_i64_e32 vcc, s[0:1], v[2:3]
	s_and_saveexec_b64 s[10:11], vcc
	s_cbranch_execnz .LBB12_36
	s_branch .LBB12_38
.LBB12_34:
	s_ashr_i32 s3, s2, 31
	s_lshl_b64 s[10:11], s[2:3], 3
	s_add_u32 s10, s4, s10
	s_addc_u32 s11, s5, s11
	s_load_dwordx2 s[10:11], s[10:11], 0x10
	s_waitcnt lgkmcnt(0)
	s_sub_u32 s10, s10, s18
	s_subb_u32 s11, s11, 0
	s_andn2_b64 vcc, exec, s[12:13]
	s_cbranch_vccnz .LBB12_33
.LBB12_35:
	s_ashr_i32 s3, s2, 31
	s_lshl_b64 s[0:1], s[2:3], 3
	s_add_u32 s0, s6, s0
	s_addc_u32 s1, s7, s1
	s_load_dwordx2 s[0:1], s[0:1], 0x10
	s_waitcnt lgkmcnt(0)
	s_sub_u32 s0, s0, s18
	s_subb_u32 s1, s1, 0
	v_lshl_add_u64 v[2:3], s[10:11], 0, v[0:1]
	v_cmp_gt_i64_e32 vcc, s[0:1], v[2:3]
	s_and_saveexec_b64 s[10:11], vcc
	s_cbranch_execz .LBB12_38
.LBB12_36:
	s_add_i32 s3, s14, s18
	v_lshl_add_u64 v[4:5], v[2:3], 2, s[8:9]
	s_mov_b64 s[12:13], 0
	v_mov_b32_e32 v6, s3
	s_mov_b64 s[14:15], 0x100
	s_mov_b64 s[16:17], 0x400
.LBB12_37:                              ; =>This Inner Loop Header: Depth=1
	v_lshl_add_u64 v[2:3], v[2:3], 0, s[14:15]
	v_cmp_le_i64_e32 vcc, s[0:1], v[2:3]
	global_store_dword v[4:5], v6, off
	s_or_b64 s[12:13], vcc, s[12:13]
	v_lshl_add_u64 v[4:5], v[4:5], 0, s[16:17]
	s_andn2_b64 exec, exec, s[12:13]
	s_cbranch_execnz .LBB12_37
.LBB12_38:
	s_or_b64 exec, exec, s[10:11]
.LBB12_39:
	v_mov_b32_e32 v6, 0
	ds_read_b32 v2, v6 offset:12
	s_waitcnt lgkmcnt(0)
	v_cmp_ne_u32_e32 vcc, 0, v2
	s_cbranch_vccz .LBB12_41
; %bb.40:
	ds_read_b32 v2, v6 offset:16
	s_waitcnt lgkmcnt(0)
	v_cmp_ne_u32_e32 vcc, 0, v2
	s_cbranch_vccnz .LBB12_57
	s_branch .LBB12_49
.LBB12_41:
	s_or_b32 s14, s2, 3
	s_cmp_lt_i32 s14, s19
	s_mov_b64 s[0:1], 0
	s_cselect_b64 s[12:13], -1, 0
	s_cmp_ge_i32 s14, s19
	s_mov_b64 s[10:11], 0
	s_cbranch_scc0 .LBB12_44
; %bb.42:
	s_andn2_b64 vcc, exec, s[12:13]
	s_cbranch_vccz .LBB12_45
.LBB12_43:
	v_lshl_add_u64 v[2:3], s[10:11], 0, v[0:1]
	v_cmp_gt_i64_e32 vcc, s[0:1], v[2:3]
	s_and_saveexec_b64 s[10:11], vcc
	s_cbranch_execnz .LBB12_46
	s_branch .LBB12_48
.LBB12_44:
	s_ashr_i32 s3, s2, 31
	s_lshl_b64 s[10:11], s[2:3], 3
	s_add_u32 s10, s4, s10
	s_addc_u32 s11, s5, s11
	s_load_dwordx2 s[10:11], s[10:11], 0x18
	s_waitcnt lgkmcnt(0)
	s_sub_u32 s10, s10, s18
	s_subb_u32 s11, s11, 0
	s_andn2_b64 vcc, exec, s[12:13]
	s_cbranch_vccnz .LBB12_43
.LBB12_45:
	s_ashr_i32 s3, s2, 31
	s_lshl_b64 s[0:1], s[2:3], 3
	s_add_u32 s0, s6, s0
	s_addc_u32 s1, s7, s1
	s_load_dwordx2 s[0:1], s[0:1], 0x18
	s_waitcnt lgkmcnt(0)
	s_sub_u32 s0, s0, s18
	s_subb_u32 s1, s1, 0
	v_lshl_add_u64 v[2:3], s[10:11], 0, v[0:1]
	v_cmp_gt_i64_e32 vcc, s[0:1], v[2:3]
	s_and_saveexec_b64 s[10:11], vcc
	s_cbranch_execz .LBB12_48
.LBB12_46:
	s_add_i32 s3, s14, s18
	v_lshl_add_u64 v[4:5], v[2:3], 2, s[8:9]
	s_mov_b64 s[12:13], 0
	v_mov_b32_e32 v7, s3
	s_mov_b64 s[14:15], 0x100
	s_mov_b64 s[16:17], 0x400
.LBB12_47:                              ; =>This Inner Loop Header: Depth=1
	v_lshl_add_u64 v[2:3], v[2:3], 0, s[14:15]
	v_cmp_le_i64_e32 vcc, s[0:1], v[2:3]
	global_store_dword v[4:5], v7, off
	s_or_b64 s[12:13], vcc, s[12:13]
	v_lshl_add_u64 v[4:5], v[4:5], 0, s[16:17]
	s_andn2_b64 exec, exec, s[12:13]
	s_cbranch_execnz .LBB12_47
.LBB12_48:
	s_or_b64 exec, exec, s[10:11]
	ds_read_b32 v2, v6 offset:16
	s_waitcnt lgkmcnt(0)
	v_cmp_ne_u32_e32 vcc, 0, v2
	s_cbranch_vccnz .LBB12_57
.LBB12_49:
	s_or_b32 s14, s2, 4
	s_cmp_lt_i32 s14, s19
	s_mov_b64 s[0:1], 0
	s_cselect_b64 s[12:13], -1, 0
	s_cmp_ge_i32 s14, s19
	s_mov_b64 s[10:11], 0
	s_cbranch_scc0 .LBB12_52
; %bb.50:
	s_andn2_b64 vcc, exec, s[12:13]
	s_cbranch_vccz .LBB12_53
.LBB12_51:
	v_lshl_add_u64 v[2:3], s[10:11], 0, v[0:1]
	v_cmp_gt_i64_e32 vcc, s[0:1], v[2:3]
	s_and_saveexec_b64 s[10:11], vcc
	s_cbranch_execnz .LBB12_54
	s_branch .LBB12_56
.LBB12_52:
	s_ashr_i32 s3, s2, 31
	s_lshl_b64 s[10:11], s[2:3], 3
	s_add_u32 s10, s4, s10
	s_addc_u32 s11, s5, s11
	s_load_dwordx2 s[10:11], s[10:11], 0x20
	s_waitcnt lgkmcnt(0)
	s_sub_u32 s10, s10, s18
	s_subb_u32 s11, s11, 0
	s_andn2_b64 vcc, exec, s[12:13]
	s_cbranch_vccnz .LBB12_51
.LBB12_53:
	s_ashr_i32 s3, s2, 31
	s_lshl_b64 s[0:1], s[2:3], 3
	s_add_u32 s0, s6, s0
	s_addc_u32 s1, s7, s1
	s_load_dwordx2 s[0:1], s[0:1], 0x20
	s_waitcnt lgkmcnt(0)
	s_sub_u32 s0, s0, s18
	s_subb_u32 s1, s1, 0
	v_lshl_add_u64 v[2:3], s[10:11], 0, v[0:1]
	v_cmp_gt_i64_e32 vcc, s[0:1], v[2:3]
	s_and_saveexec_b64 s[10:11], vcc
	s_cbranch_execz .LBB12_56
.LBB12_54:
	s_add_i32 s3, s14, s18
	v_lshl_add_u64 v[4:5], v[2:3], 2, s[8:9]
	s_mov_b64 s[12:13], 0
	v_mov_b32_e32 v6, s3
	s_mov_b64 s[14:15], 0x100
	s_mov_b64 s[16:17], 0x400
.LBB12_55:                              ; =>This Inner Loop Header: Depth=1
	v_lshl_add_u64 v[2:3], v[2:3], 0, s[14:15]
	v_cmp_le_i64_e32 vcc, s[0:1], v[2:3]
	global_store_dword v[4:5], v6, off
	s_or_b64 s[12:13], vcc, s[12:13]
	v_lshl_add_u64 v[4:5], v[4:5], 0, s[16:17]
	s_andn2_b64 exec, exec, s[12:13]
	s_cbranch_execnz .LBB12_55
.LBB12_56:
	s_or_b64 exec, exec, s[10:11]
.LBB12_57:
	v_mov_b32_e32 v6, 0
	ds_read_b32 v2, v6 offset:20
	s_waitcnt lgkmcnt(0)
	v_cmp_ne_u32_e32 vcc, 0, v2
	s_cbranch_vccz .LBB12_59
; %bb.58:
	ds_read_b32 v2, v6 offset:24
	s_waitcnt lgkmcnt(0)
	v_cmp_ne_u32_e32 vcc, 0, v2
	s_cbranch_vccnz .LBB12_75
	s_branch .LBB12_67
.LBB12_59:
	s_or_b32 s14, s2, 5
	s_cmp_lt_i32 s14, s19
	s_mov_b64 s[0:1], 0
	s_cselect_b64 s[12:13], -1, 0
	s_cmp_ge_i32 s14, s19
	s_mov_b64 s[10:11], 0
	s_cbranch_scc0 .LBB12_62
; %bb.60:
	s_andn2_b64 vcc, exec, s[12:13]
	s_cbranch_vccz .LBB12_63
.LBB12_61:
	v_lshl_add_u64 v[2:3], s[10:11], 0, v[0:1]
	v_cmp_gt_i64_e32 vcc, s[0:1], v[2:3]
	s_and_saveexec_b64 s[10:11], vcc
	s_cbranch_execnz .LBB12_64
	s_branch .LBB12_66
.LBB12_62:
	s_ashr_i32 s3, s2, 31
	s_lshl_b64 s[10:11], s[2:3], 3
	s_add_u32 s10, s4, s10
	s_addc_u32 s11, s5, s11
	s_load_dwordx2 s[10:11], s[10:11], 0x28
	s_waitcnt lgkmcnt(0)
	s_sub_u32 s10, s10, s18
	s_subb_u32 s11, s11, 0
	s_andn2_b64 vcc, exec, s[12:13]
	s_cbranch_vccnz .LBB12_61
.LBB12_63:
	s_ashr_i32 s3, s2, 31
	s_lshl_b64 s[0:1], s[2:3], 3
	s_add_u32 s0, s6, s0
	s_addc_u32 s1, s7, s1
	s_load_dwordx2 s[0:1], s[0:1], 0x28
	s_waitcnt lgkmcnt(0)
	s_sub_u32 s0, s0, s18
	s_subb_u32 s1, s1, 0
	v_lshl_add_u64 v[2:3], s[10:11], 0, v[0:1]
	v_cmp_gt_i64_e32 vcc, s[0:1], v[2:3]
	s_and_saveexec_b64 s[10:11], vcc
	s_cbranch_execz .LBB12_66
.LBB12_64:
	s_add_i32 s3, s14, s18
	v_lshl_add_u64 v[4:5], v[2:3], 2, s[8:9]
	s_mov_b64 s[12:13], 0
	v_mov_b32_e32 v7, s3
	s_mov_b64 s[14:15], 0x100
	s_mov_b64 s[16:17], 0x400
.LBB12_65:                              ; =>This Inner Loop Header: Depth=1
	v_lshl_add_u64 v[2:3], v[2:3], 0, s[14:15]
	v_cmp_le_i64_e32 vcc, s[0:1], v[2:3]
	global_store_dword v[4:5], v7, off
	s_or_b64 s[12:13], vcc, s[12:13]
	v_lshl_add_u64 v[4:5], v[4:5], 0, s[16:17]
	s_andn2_b64 exec, exec, s[12:13]
	s_cbranch_execnz .LBB12_65
.LBB12_66:
	s_or_b64 exec, exec, s[10:11]
	ds_read_b32 v2, v6 offset:24
	s_waitcnt lgkmcnt(0)
	v_cmp_ne_u32_e32 vcc, 0, v2
	s_cbranch_vccnz .LBB12_75
.LBB12_67:
	s_or_b32 s14, s2, 6
	s_cmp_lt_i32 s14, s19
	s_mov_b64 s[0:1], 0
	s_cselect_b64 s[12:13], -1, 0
	s_cmp_ge_i32 s14, s19
	s_mov_b64 s[10:11], 0
	s_cbranch_scc0 .LBB12_70
; %bb.68:
	s_andn2_b64 vcc, exec, s[12:13]
	s_cbranch_vccz .LBB12_71
.LBB12_69:
	v_lshl_add_u64 v[2:3], s[10:11], 0, v[0:1]
	v_cmp_gt_i64_e32 vcc, s[0:1], v[2:3]
	s_and_saveexec_b64 s[10:11], vcc
	s_cbranch_execnz .LBB12_72
	s_branch .LBB12_74
.LBB12_70:
	s_ashr_i32 s3, s2, 31
	s_lshl_b64 s[10:11], s[2:3], 3
	s_add_u32 s10, s4, s10
	s_addc_u32 s11, s5, s11
	s_load_dwordx2 s[10:11], s[10:11], 0x30
	s_waitcnt lgkmcnt(0)
	s_sub_u32 s10, s10, s18
	s_subb_u32 s11, s11, 0
	s_andn2_b64 vcc, exec, s[12:13]
	s_cbranch_vccnz .LBB12_69
.LBB12_71:
	s_ashr_i32 s3, s2, 31
	s_lshl_b64 s[0:1], s[2:3], 3
	s_add_u32 s0, s6, s0
	s_addc_u32 s1, s7, s1
	s_load_dwordx2 s[0:1], s[0:1], 0x30
	s_waitcnt lgkmcnt(0)
	s_sub_u32 s0, s0, s18
	s_subb_u32 s1, s1, 0
	v_lshl_add_u64 v[2:3], s[10:11], 0, v[0:1]
	v_cmp_gt_i64_e32 vcc, s[0:1], v[2:3]
	s_and_saveexec_b64 s[10:11], vcc
	s_cbranch_execz .LBB12_74
.LBB12_72:
	s_add_i32 s3, s14, s18
	v_lshl_add_u64 v[4:5], v[2:3], 2, s[8:9]
	s_mov_b64 s[12:13], 0
	v_mov_b32_e32 v6, s3
	s_mov_b64 s[14:15], 0x100
	s_mov_b64 s[16:17], 0x400
.LBB12_73:                              ; =>This Inner Loop Header: Depth=1
	v_lshl_add_u64 v[2:3], v[2:3], 0, s[14:15]
	v_cmp_le_i64_e32 vcc, s[0:1], v[2:3]
	global_store_dword v[4:5], v6, off
	s_or_b64 s[12:13], vcc, s[12:13]
	v_lshl_add_u64 v[4:5], v[4:5], 0, s[16:17]
	s_andn2_b64 exec, exec, s[12:13]
	s_cbranch_execnz .LBB12_73
.LBB12_74:
	s_or_b64 exec, exec, s[10:11]
.LBB12_75:
	v_mov_b32_e32 v2, 0
	ds_read_b32 v2, v2 offset:28
	s_waitcnt lgkmcnt(0)
	v_cmp_ne_u32_e32 vcc, 0, v2
	s_cbranch_vccnz .LBB12_83
; %bb.76:
	s_or_b32 s14, s2, 7
	s_cmp_lt_i32 s14, s19
	s_mov_b64 s[0:1], 0
	s_cselect_b64 s[12:13], -1, 0
	s_cmp_ge_i32 s14, s19
	s_mov_b64 s[10:11], 0
	s_cbranch_scc0 .LBB12_79
; %bb.77:
	s_andn2_b64 vcc, exec, s[12:13]
	s_cbranch_vccz .LBB12_80
.LBB12_78:
	v_lshl_add_u64 v[0:1], s[10:11], 0, v[0:1]
	v_cmp_gt_i64_e32 vcc, s[0:1], v[0:1]
	s_and_saveexec_b64 s[2:3], vcc
	s_cbranch_execnz .LBB12_81
	s_branch .LBB12_83
.LBB12_79:
	s_ashr_i32 s3, s2, 31
	s_lshl_b64 s[10:11], s[2:3], 3
	s_add_u32 s4, s4, s10
	s_addc_u32 s5, s5, s11
	s_load_dwordx2 s[4:5], s[4:5], 0x38
	s_waitcnt lgkmcnt(0)
	s_sub_u32 s10, s4, s18
	s_subb_u32 s11, s5, 0
	s_andn2_b64 vcc, exec, s[12:13]
	s_cbranch_vccnz .LBB12_78
.LBB12_80:
	s_ashr_i32 s3, s2, 31
	s_lshl_b64 s[0:1], s[2:3], 3
	s_add_u32 s0, s6, s0
	s_addc_u32 s1, s7, s1
	s_load_dwordx2 s[0:1], s[0:1], 0x38
	s_waitcnt lgkmcnt(0)
	s_sub_u32 s0, s0, s18
	s_subb_u32 s1, s1, 0
	v_lshl_add_u64 v[0:1], s[10:11], 0, v[0:1]
	v_cmp_gt_i64_e32 vcc, s[0:1], v[0:1]
	s_and_saveexec_b64 s[2:3], vcc
	s_cbranch_execz .LBB12_83
.LBB12_81:
	s_add_i32 s4, s14, s18
	v_lshl_add_u64 v[2:3], v[0:1], 2, s[8:9]
	s_mov_b64 s[2:3], 0
	v_mov_b32_e32 v4, s4
	s_mov_b64 s[4:5], 0x100
	s_mov_b64 s[6:7], 0x400
.LBB12_82:                              ; =>This Inner Loop Header: Depth=1
	v_lshl_add_u64 v[0:1], v[0:1], 0, s[4:5]
	v_cmp_le_i64_e32 vcc, s[0:1], v[0:1]
	global_store_dword v[2:3], v4, off
	s_or_b64 s[2:3], vcc, s[2:3]
	v_lshl_add_u64 v[2:3], v[2:3], 0, s[6:7]
	s_andn2_b64 exec, exec, s[2:3]
	s_cbranch_execnz .LBB12_82
.LBB12_83:
	s_endpgm
	.section	.rodata,"a",@progbits
	.p2align	6, 0x0
	.amdhsa_kernel _ZN9rocsparseL14csr2coo_kernelILj256ELj32EliEEvT2_PKT1_S4_PS1_21rocsparse_index_base_
		.amdhsa_group_segment_fixed_size 36
		.amdhsa_private_segment_fixed_size 0
		.amdhsa_kernarg_size 36
		.amdhsa_user_sgpr_count 2
		.amdhsa_user_sgpr_dispatch_ptr 0
		.amdhsa_user_sgpr_queue_ptr 0
		.amdhsa_user_sgpr_kernarg_segment_ptr 1
		.amdhsa_user_sgpr_dispatch_id 0
		.amdhsa_user_sgpr_kernarg_preload_length 0
		.amdhsa_user_sgpr_kernarg_preload_offset 0
		.amdhsa_user_sgpr_private_segment_size 0
		.amdhsa_uses_dynamic_stack 0
		.amdhsa_enable_private_segment 0
		.amdhsa_system_sgpr_workgroup_id_x 1
		.amdhsa_system_sgpr_workgroup_id_y 0
		.amdhsa_system_sgpr_workgroup_id_z 0
		.amdhsa_system_sgpr_workgroup_info 0
		.amdhsa_system_vgpr_workitem_id 0
		.amdhsa_next_free_vgpr 10
		.amdhsa_next_free_sgpr 20
		.amdhsa_accum_offset 12
		.amdhsa_reserve_vcc 1
		.amdhsa_float_round_mode_32 0
		.amdhsa_float_round_mode_16_64 0
		.amdhsa_float_denorm_mode_32 3
		.amdhsa_float_denorm_mode_16_64 3
		.amdhsa_dx10_clamp 1
		.amdhsa_ieee_mode 1
		.amdhsa_fp16_overflow 0
		.amdhsa_tg_split 0
		.amdhsa_exception_fp_ieee_invalid_op 0
		.amdhsa_exception_fp_denorm_src 0
		.amdhsa_exception_fp_ieee_div_zero 0
		.amdhsa_exception_fp_ieee_overflow 0
		.amdhsa_exception_fp_ieee_underflow 0
		.amdhsa_exception_fp_ieee_inexact 0
		.amdhsa_exception_int_div_zero 0
	.end_amdhsa_kernel
	.section	.text._ZN9rocsparseL14csr2coo_kernelILj256ELj32EliEEvT2_PKT1_S4_PS1_21rocsparse_index_base_,"axG",@progbits,_ZN9rocsparseL14csr2coo_kernelILj256ELj32EliEEvT2_PKT1_S4_PS1_21rocsparse_index_base_,comdat
.Lfunc_end12:
	.size	_ZN9rocsparseL14csr2coo_kernelILj256ELj32EliEEvT2_PKT1_S4_PS1_21rocsparse_index_base_, .Lfunc_end12-_ZN9rocsparseL14csr2coo_kernelILj256ELj32EliEEvT2_PKT1_S4_PS1_21rocsparse_index_base_
                                        ; -- End function
	.set _ZN9rocsparseL14csr2coo_kernelILj256ELj32EliEEvT2_PKT1_S4_PS1_21rocsparse_index_base_.num_vgpr, 10
	.set _ZN9rocsparseL14csr2coo_kernelILj256ELj32EliEEvT2_PKT1_S4_PS1_21rocsparse_index_base_.num_agpr, 0
	.set _ZN9rocsparseL14csr2coo_kernelILj256ELj32EliEEvT2_PKT1_S4_PS1_21rocsparse_index_base_.numbered_sgpr, 20
	.set _ZN9rocsparseL14csr2coo_kernelILj256ELj32EliEEvT2_PKT1_S4_PS1_21rocsparse_index_base_.num_named_barrier, 0
	.set _ZN9rocsparseL14csr2coo_kernelILj256ELj32EliEEvT2_PKT1_S4_PS1_21rocsparse_index_base_.private_seg_size, 0
	.set _ZN9rocsparseL14csr2coo_kernelILj256ELj32EliEEvT2_PKT1_S4_PS1_21rocsparse_index_base_.uses_vcc, 1
	.set _ZN9rocsparseL14csr2coo_kernelILj256ELj32EliEEvT2_PKT1_S4_PS1_21rocsparse_index_base_.uses_flat_scratch, 0
	.set _ZN9rocsparseL14csr2coo_kernelILj256ELj32EliEEvT2_PKT1_S4_PS1_21rocsparse_index_base_.has_dyn_sized_stack, 0
	.set _ZN9rocsparseL14csr2coo_kernelILj256ELj32EliEEvT2_PKT1_S4_PS1_21rocsparse_index_base_.has_recursion, 0
	.set _ZN9rocsparseL14csr2coo_kernelILj256ELj32EliEEvT2_PKT1_S4_PS1_21rocsparse_index_base_.has_indirect_call, 0
	.section	.AMDGPU.csdata,"",@progbits
; Kernel info:
; codeLenInByte = 2572
; TotalNumSgprs: 26
; NumVgprs: 10
; NumAgprs: 0
; TotalNumVgprs: 10
; ScratchSize: 0
; MemoryBound: 0
; FloatMode: 240
; IeeeMode: 1
; LDSByteSize: 36 bytes/workgroup (compile time only)
; SGPRBlocks: 3
; VGPRBlocks: 1
; NumSGPRsForWavesPerEU: 26
; NumVGPRsForWavesPerEU: 10
; AccumOffset: 12
; Occupancy: 8
; WaveLimiterHint : 0
; COMPUTE_PGM_RSRC2:SCRATCH_EN: 0
; COMPUTE_PGM_RSRC2:USER_SGPR: 2
; COMPUTE_PGM_RSRC2:TRAP_HANDLER: 0
; COMPUTE_PGM_RSRC2:TGID_X_EN: 1
; COMPUTE_PGM_RSRC2:TGID_Y_EN: 0
; COMPUTE_PGM_RSRC2:TGID_Z_EN: 0
; COMPUTE_PGM_RSRC2:TIDIG_COMP_CNT: 0
; COMPUTE_PGM_RSRC3_GFX90A:ACCUM_OFFSET: 2
; COMPUTE_PGM_RSRC3_GFX90A:TG_SPLIT: 0
	.section	.text._ZN9rocsparseL14csr2coo_kernelILj256ELj64EliEEvT2_PKT1_S4_PS1_21rocsparse_index_base_,"axG",@progbits,_ZN9rocsparseL14csr2coo_kernelILj256ELj64EliEEvT2_PKT1_S4_PS1_21rocsparse_index_base_,comdat
	.globl	_ZN9rocsparseL14csr2coo_kernelILj256ELj64EliEEvT2_PKT1_S4_PS1_21rocsparse_index_base_ ; -- Begin function _ZN9rocsparseL14csr2coo_kernelILj256ELj64EliEEvT2_PKT1_S4_PS1_21rocsparse_index_base_
	.p2align	8
	.type	_ZN9rocsparseL14csr2coo_kernelILj256ELj64EliEEvT2_PKT1_S4_PS1_21rocsparse_index_base_,@function
_ZN9rocsparseL14csr2coo_kernelILj256ELj64EliEEvT2_PKT1_S4_PS1_21rocsparse_index_base_: ; @_ZN9rocsparseL14csr2coo_kernelILj256ELj64EliEEvT2_PKT1_S4_PS1_21rocsparse_index_base_
; %bb.0:
	s_load_dword s19, s[0:1], 0x0
	s_load_dwordx4 s[4:7], s[0:1], 0x8
	s_load_dwordx2 s[8:9], s[0:1], 0x18
	s_load_dword s18, s[0:1], 0x20
	v_lshrrev_b32_e32 v1, 6, v0
	s_lshl_b32 s2, s2, 2
	v_mov_b32_e32 v2, 1
	v_mov_b32_e32 v3, 0
	v_or_b32_e32 v4, s2, v1
	ds_write_b32 v3, v2 offset:16
	s_waitcnt lgkmcnt(0)
	v_cmp_gt_i32_e32 vcc, s19, v4
	v_mov_b64_e32 v[2:3], 0
	v_ashrrev_i32_e32 v5, 31, v4
	v_mov_b64_e32 v[6:7], 0
	s_barrier
	s_and_saveexec_b64 s[10:11], vcc
	s_cbranch_execz .LBB13_2
; %bb.1:
	v_lshl_add_u64 v[6:7], v[4:5], 3, s[4:5]
	global_load_dwordx2 v[6:7], v[6:7], off
	s_waitcnt vmcnt(0)
	v_subrev_co_u32_e64 v6, s[0:1], s18, v6
	s_nop 1
	v_subbrev_co_u32_e64 v7, s[0:1], 0, v7, s[0:1]
.LBB13_2:
	s_or_b64 exec, exec, s[10:11]
	s_and_saveexec_b64 s[0:1], vcc
	s_cbranch_execz .LBB13_4
; %bb.3:
	v_lshl_add_u64 v[2:3], v[4:5], 3, s[6:7]
	global_load_dwordx2 v[2:3], v[2:3], off
	s_waitcnt vmcnt(0)
	v_subrev_co_u32_e32 v2, vcc, s18, v2
	s_nop 1
	v_subbrev_co_u32_e32 v3, vcc, 0, v3, vcc
.LBB13_4:
	s_or_b64 exec, exec, s[0:1]
	v_sub_co_u32_e32 v8, vcc, v2, v6
	s_mov_b64 s[0:1], 0x201
	s_nop 0
	v_subb_co_u32_e32 v9, vcc, v3, v7, vcc
	v_cmp_gt_i64_e32 vcc, s[0:1], v[8:9]
	s_mov_b64 s[0:1], 0x200
	v_cmp_lt_i64_e64 s[0:1], s[0:1], v[8:9]
	s_and_saveexec_b64 s[10:11], s[0:1]
	s_xor_b64 s[0:1], exec, s[10:11]
; %bb.5:
	v_mov_b32_e32 v2, 0
	ds_write_b32 v2, v2 offset:16
                                        ; implicit-def: $vgpr6_vgpr7
                                        ; implicit-def: $vgpr2_vgpr3
                                        ; implicit-def: $vgpr4
; %bb.6:
	s_andn2_saveexec_b64 s[10:11], s[0:1]
	s_cbranch_execz .LBB13_11
; %bb.7:
	v_and_b32_e32 v8, 63, v0
	v_mov_b32_e32 v9, 0
	v_lshl_add_u64 v[6:7], v[6:7], 0, v[8:9]
	v_cmp_lt_i64_e64 s[0:1], v[6:7], v[2:3]
	s_and_saveexec_b64 s[12:13], s[0:1]
	s_cbranch_execz .LBB13_10
; %bb.8:
	v_add_u32_e32 v8, s18, v4
	v_lshl_add_u64 v[4:5], v[6:7], 2, s[8:9]
	s_mov_b64 s[14:15], 0
	s_mov_b64 s[16:17], 0x100
.LBB13_9:                               ; =>This Inner Loop Header: Depth=1
	v_lshl_add_u64 v[6:7], v[6:7], 0, 64
	v_cmp_ge_i64_e64 s[0:1], v[6:7], v[2:3]
	global_store_dword v[4:5], v8, off
	s_or_b64 s[14:15], s[0:1], s[14:15]
	v_lshl_add_u64 v[4:5], v[4:5], 0, s[16:17]
	s_andn2_b64 exec, exec, s[14:15]
	s_cbranch_execnz .LBB13_9
.LBB13_10:
	s_or_b64 exec, exec, s[12:13]
.LBB13_11:
	s_or_b64 exec, exec, s[10:11]
	v_cndmask_b32_e64 v2, 0, 1, vcc
	v_lshlrev_b32_e32 v1, 2, v1
	ds_write_b32 v1, v2
	v_mov_b32_e32 v1, 0
	s_waitcnt lgkmcnt(0)
	s_barrier
	ds_read_b32 v2, v1 offset:16
	s_waitcnt lgkmcnt(0)
	v_cmp_ne_u32_e32 vcc, 0, v2
	s_cbranch_vccnz .LBB13_47
; %bb.12:
	ds_read_b32 v2, v1
	s_waitcnt lgkmcnt(0)
	v_cmp_ne_u32_e32 vcc, 0, v2
	s_cbranch_vccnz .LBB13_21
; %bb.13:
	s_cmp_lt_i32 s2, s19
	s_mov_b64 s[0:1], 0
	s_cselect_b64 s[12:13], -1, 0
	s_cmp_ge_i32 s2, s19
	s_mov_b64 s[10:11], 0
	s_cbranch_scc0 .LBB13_16
; %bb.14:
	s_andn2_b64 vcc, exec, s[12:13]
	s_cbranch_vccz .LBB13_17
.LBB13_15:
	v_lshl_add_u64 v[2:3], s[10:11], 0, v[0:1]
	v_cmp_gt_i64_e32 vcc, s[0:1], v[2:3]
	s_and_saveexec_b64 s[10:11], vcc
	s_cbranch_execnz .LBB13_18
	s_branch .LBB13_20
.LBB13_16:
	s_ashr_i32 s3, s2, 31
	s_lshl_b64 s[10:11], s[2:3], 3
	s_add_u32 s10, s4, s10
	s_addc_u32 s11, s5, s11
	s_load_dwordx2 s[10:11], s[10:11], 0x0
	s_waitcnt lgkmcnt(0)
	s_sub_u32 s10, s10, s18
	s_subb_u32 s11, s11, 0
	s_andn2_b64 vcc, exec, s[12:13]
	s_cbranch_vccnz .LBB13_15
.LBB13_17:
	s_ashr_i32 s3, s2, 31
	s_lshl_b64 s[0:1], s[2:3], 3
	s_add_u32 s0, s6, s0
	s_addc_u32 s1, s7, s1
	s_load_dwordx2 s[0:1], s[0:1], 0x0
	s_waitcnt lgkmcnt(0)
	s_sub_u32 s0, s0, s18
	s_subb_u32 s1, s1, 0
	v_lshl_add_u64 v[2:3], s[10:11], 0, v[0:1]
	v_cmp_gt_i64_e32 vcc, s[0:1], v[2:3]
	s_and_saveexec_b64 s[10:11], vcc
	s_cbranch_execz .LBB13_20
.LBB13_18:
	s_add_i32 s3, s2, s18
	v_lshl_add_u64 v[4:5], v[2:3], 2, s[8:9]
	s_mov_b64 s[12:13], 0
	v_mov_b32_e32 v6, s3
	s_mov_b64 s[14:15], 0x100
	s_mov_b64 s[16:17], 0x400
.LBB13_19:                              ; =>This Inner Loop Header: Depth=1
	v_lshl_add_u64 v[2:3], v[2:3], 0, s[14:15]
	v_cmp_le_i64_e32 vcc, s[0:1], v[2:3]
	global_store_dword v[4:5], v6, off
	s_or_b64 s[12:13], vcc, s[12:13]
	v_lshl_add_u64 v[4:5], v[4:5], 0, s[16:17]
	s_andn2_b64 exec, exec, s[12:13]
	s_cbranch_execnz .LBB13_19
.LBB13_20:
	s_or_b64 exec, exec, s[10:11]
.LBB13_21:
	v_mov_b32_e32 v6, 0
	ds_read_b32 v2, v6 offset:4
	s_waitcnt lgkmcnt(0)
	v_cmp_ne_u32_e32 vcc, 0, v2
	s_cbranch_vccz .LBB13_23
; %bb.22:
	ds_read_b32 v2, v6 offset:8
	s_waitcnt lgkmcnt(0)
	v_cmp_ne_u32_e32 vcc, 0, v2
	s_cbranch_vccnz .LBB13_39
	s_branch .LBB13_31
.LBB13_23:
	s_or_b32 s14, s2, 1
	s_cmp_lt_i32 s14, s19
	s_mov_b64 s[0:1], 0
	s_cselect_b64 s[12:13], -1, 0
	s_cmp_ge_i32 s14, s19
	s_mov_b64 s[10:11], 0
	s_cbranch_scc0 .LBB13_26
; %bb.24:
	s_andn2_b64 vcc, exec, s[12:13]
	s_cbranch_vccz .LBB13_27
.LBB13_25:
	v_lshl_add_u64 v[2:3], s[10:11], 0, v[0:1]
	v_cmp_gt_i64_e32 vcc, s[0:1], v[2:3]
	s_and_saveexec_b64 s[10:11], vcc
	s_cbranch_execnz .LBB13_28
	s_branch .LBB13_30
.LBB13_26:
	s_ashr_i32 s3, s2, 31
	s_lshl_b64 s[10:11], s[2:3], 3
	s_add_u32 s10, s4, s10
	s_addc_u32 s11, s5, s11
	s_load_dwordx2 s[10:11], s[10:11], 0x8
	s_waitcnt lgkmcnt(0)
	s_sub_u32 s10, s10, s18
	s_subb_u32 s11, s11, 0
	s_andn2_b64 vcc, exec, s[12:13]
	s_cbranch_vccnz .LBB13_25
.LBB13_27:
	s_ashr_i32 s3, s2, 31
	s_lshl_b64 s[0:1], s[2:3], 3
	s_add_u32 s0, s6, s0
	s_addc_u32 s1, s7, s1
	s_load_dwordx2 s[0:1], s[0:1], 0x8
	s_waitcnt lgkmcnt(0)
	s_sub_u32 s0, s0, s18
	s_subb_u32 s1, s1, 0
	v_lshl_add_u64 v[2:3], s[10:11], 0, v[0:1]
	v_cmp_gt_i64_e32 vcc, s[0:1], v[2:3]
	s_and_saveexec_b64 s[10:11], vcc
	s_cbranch_execz .LBB13_30
.LBB13_28:
	s_add_i32 s3, s14, s18
	v_lshl_add_u64 v[4:5], v[2:3], 2, s[8:9]
	s_mov_b64 s[12:13], 0
	v_mov_b32_e32 v7, s3
	s_mov_b64 s[14:15], 0x100
	s_mov_b64 s[16:17], 0x400
.LBB13_29:                              ; =>This Inner Loop Header: Depth=1
	v_lshl_add_u64 v[2:3], v[2:3], 0, s[14:15]
	v_cmp_le_i64_e32 vcc, s[0:1], v[2:3]
	global_store_dword v[4:5], v7, off
	s_or_b64 s[12:13], vcc, s[12:13]
	v_lshl_add_u64 v[4:5], v[4:5], 0, s[16:17]
	s_andn2_b64 exec, exec, s[12:13]
	s_cbranch_execnz .LBB13_29
.LBB13_30:
	s_or_b64 exec, exec, s[10:11]
	ds_read_b32 v2, v6 offset:8
	s_waitcnt lgkmcnt(0)
	v_cmp_ne_u32_e32 vcc, 0, v2
	s_cbranch_vccnz .LBB13_39
.LBB13_31:
	s_or_b32 s14, s2, 2
	s_cmp_lt_i32 s14, s19
	s_mov_b64 s[0:1], 0
	s_cselect_b64 s[12:13], -1, 0
	s_cmp_ge_i32 s14, s19
	s_mov_b64 s[10:11], 0
	s_cbranch_scc0 .LBB13_34
; %bb.32:
	s_andn2_b64 vcc, exec, s[12:13]
	s_cbranch_vccz .LBB13_35
.LBB13_33:
	v_lshl_add_u64 v[2:3], s[10:11], 0, v[0:1]
	v_cmp_gt_i64_e32 vcc, s[0:1], v[2:3]
	s_and_saveexec_b64 s[10:11], vcc
	s_cbranch_execnz .LBB13_36
	s_branch .LBB13_38
.LBB13_34:
	s_ashr_i32 s3, s2, 31
	s_lshl_b64 s[10:11], s[2:3], 3
	s_add_u32 s10, s4, s10
	s_addc_u32 s11, s5, s11
	s_load_dwordx2 s[10:11], s[10:11], 0x10
	s_waitcnt lgkmcnt(0)
	s_sub_u32 s10, s10, s18
	s_subb_u32 s11, s11, 0
	s_andn2_b64 vcc, exec, s[12:13]
	s_cbranch_vccnz .LBB13_33
.LBB13_35:
	s_ashr_i32 s3, s2, 31
	s_lshl_b64 s[0:1], s[2:3], 3
	s_add_u32 s0, s6, s0
	s_addc_u32 s1, s7, s1
	s_load_dwordx2 s[0:1], s[0:1], 0x10
	s_waitcnt lgkmcnt(0)
	s_sub_u32 s0, s0, s18
	s_subb_u32 s1, s1, 0
	v_lshl_add_u64 v[2:3], s[10:11], 0, v[0:1]
	v_cmp_gt_i64_e32 vcc, s[0:1], v[2:3]
	s_and_saveexec_b64 s[10:11], vcc
	s_cbranch_execz .LBB13_38
.LBB13_36:
	s_add_i32 s3, s14, s18
	v_lshl_add_u64 v[4:5], v[2:3], 2, s[8:9]
	s_mov_b64 s[12:13], 0
	v_mov_b32_e32 v6, s3
	s_mov_b64 s[14:15], 0x100
	s_mov_b64 s[16:17], 0x400
.LBB13_37:                              ; =>This Inner Loop Header: Depth=1
	v_lshl_add_u64 v[2:3], v[2:3], 0, s[14:15]
	v_cmp_le_i64_e32 vcc, s[0:1], v[2:3]
	global_store_dword v[4:5], v6, off
	s_or_b64 s[12:13], vcc, s[12:13]
	v_lshl_add_u64 v[4:5], v[4:5], 0, s[16:17]
	s_andn2_b64 exec, exec, s[12:13]
	s_cbranch_execnz .LBB13_37
.LBB13_38:
	s_or_b64 exec, exec, s[10:11]
.LBB13_39:
	v_mov_b32_e32 v2, 0
	ds_read_b32 v2, v2 offset:12
	s_waitcnt lgkmcnt(0)
	v_cmp_ne_u32_e32 vcc, 0, v2
	s_cbranch_vccnz .LBB13_47
; %bb.40:
	s_or_b32 s14, s2, 3
	s_cmp_lt_i32 s14, s19
	s_mov_b64 s[0:1], 0
	s_cselect_b64 s[12:13], -1, 0
	s_cmp_ge_i32 s14, s19
	s_mov_b64 s[10:11], 0
	s_cbranch_scc0 .LBB13_43
; %bb.41:
	s_andn2_b64 vcc, exec, s[12:13]
	s_cbranch_vccz .LBB13_44
.LBB13_42:
	v_lshl_add_u64 v[0:1], s[10:11], 0, v[0:1]
	v_cmp_gt_i64_e32 vcc, s[0:1], v[0:1]
	s_and_saveexec_b64 s[2:3], vcc
	s_cbranch_execnz .LBB13_45
	s_branch .LBB13_47
.LBB13_43:
	s_ashr_i32 s3, s2, 31
	s_lshl_b64 s[10:11], s[2:3], 3
	s_add_u32 s4, s4, s10
	s_addc_u32 s5, s5, s11
	s_load_dwordx2 s[4:5], s[4:5], 0x18
	s_waitcnt lgkmcnt(0)
	s_sub_u32 s10, s4, s18
	s_subb_u32 s11, s5, 0
	s_andn2_b64 vcc, exec, s[12:13]
	s_cbranch_vccnz .LBB13_42
.LBB13_44:
	s_ashr_i32 s3, s2, 31
	s_lshl_b64 s[0:1], s[2:3], 3
	s_add_u32 s0, s6, s0
	s_addc_u32 s1, s7, s1
	s_load_dwordx2 s[0:1], s[0:1], 0x18
	s_waitcnt lgkmcnt(0)
	s_sub_u32 s0, s0, s18
	s_subb_u32 s1, s1, 0
	v_lshl_add_u64 v[0:1], s[10:11], 0, v[0:1]
	v_cmp_gt_i64_e32 vcc, s[0:1], v[0:1]
	s_and_saveexec_b64 s[2:3], vcc
	s_cbranch_execz .LBB13_47
.LBB13_45:
	s_add_i32 s4, s14, s18
	v_lshl_add_u64 v[2:3], v[0:1], 2, s[8:9]
	s_mov_b64 s[2:3], 0
	v_mov_b32_e32 v4, s4
	s_mov_b64 s[4:5], 0x100
	s_mov_b64 s[6:7], 0x400
.LBB13_46:                              ; =>This Inner Loop Header: Depth=1
	v_lshl_add_u64 v[0:1], v[0:1], 0, s[4:5]
	v_cmp_le_i64_e32 vcc, s[0:1], v[0:1]
	global_store_dword v[2:3], v4, off
	s_or_b64 s[2:3], vcc, s[2:3]
	v_lshl_add_u64 v[2:3], v[2:3], 0, s[6:7]
	s_andn2_b64 exec, exec, s[2:3]
	s_cbranch_execnz .LBB13_46
.LBB13_47:
	s_endpgm
	.section	.rodata,"a",@progbits
	.p2align	6, 0x0
	.amdhsa_kernel _ZN9rocsparseL14csr2coo_kernelILj256ELj64EliEEvT2_PKT1_S4_PS1_21rocsparse_index_base_
		.amdhsa_group_segment_fixed_size 20
		.amdhsa_private_segment_fixed_size 0
		.amdhsa_kernarg_size 36
		.amdhsa_user_sgpr_count 2
		.amdhsa_user_sgpr_dispatch_ptr 0
		.amdhsa_user_sgpr_queue_ptr 0
		.amdhsa_user_sgpr_kernarg_segment_ptr 1
		.amdhsa_user_sgpr_dispatch_id 0
		.amdhsa_user_sgpr_kernarg_preload_length 0
		.amdhsa_user_sgpr_kernarg_preload_offset 0
		.amdhsa_user_sgpr_private_segment_size 0
		.amdhsa_uses_dynamic_stack 0
		.amdhsa_enable_private_segment 0
		.amdhsa_system_sgpr_workgroup_id_x 1
		.amdhsa_system_sgpr_workgroup_id_y 0
		.amdhsa_system_sgpr_workgroup_id_z 0
		.amdhsa_system_sgpr_workgroup_info 0
		.amdhsa_system_vgpr_workitem_id 0
		.amdhsa_next_free_vgpr 10
		.amdhsa_next_free_sgpr 20
		.amdhsa_accum_offset 12
		.amdhsa_reserve_vcc 1
		.amdhsa_float_round_mode_32 0
		.amdhsa_float_round_mode_16_64 0
		.amdhsa_float_denorm_mode_32 3
		.amdhsa_float_denorm_mode_16_64 3
		.amdhsa_dx10_clamp 1
		.amdhsa_ieee_mode 1
		.amdhsa_fp16_overflow 0
		.amdhsa_tg_split 0
		.amdhsa_exception_fp_ieee_invalid_op 0
		.amdhsa_exception_fp_denorm_src 0
		.amdhsa_exception_fp_ieee_div_zero 0
		.amdhsa_exception_fp_ieee_overflow 0
		.amdhsa_exception_fp_ieee_underflow 0
		.amdhsa_exception_fp_ieee_inexact 0
		.amdhsa_exception_int_div_zero 0
	.end_amdhsa_kernel
	.section	.text._ZN9rocsparseL14csr2coo_kernelILj256ELj64EliEEvT2_PKT1_S4_PS1_21rocsparse_index_base_,"axG",@progbits,_ZN9rocsparseL14csr2coo_kernelILj256ELj64EliEEvT2_PKT1_S4_PS1_21rocsparse_index_base_,comdat
.Lfunc_end13:
	.size	_ZN9rocsparseL14csr2coo_kernelILj256ELj64EliEEvT2_PKT1_S4_PS1_21rocsparse_index_base_, .Lfunc_end13-_ZN9rocsparseL14csr2coo_kernelILj256ELj64EliEEvT2_PKT1_S4_PS1_21rocsparse_index_base_
                                        ; -- End function
	.set _ZN9rocsparseL14csr2coo_kernelILj256ELj64EliEEvT2_PKT1_S4_PS1_21rocsparse_index_base_.num_vgpr, 10
	.set _ZN9rocsparseL14csr2coo_kernelILj256ELj64EliEEvT2_PKT1_S4_PS1_21rocsparse_index_base_.num_agpr, 0
	.set _ZN9rocsparseL14csr2coo_kernelILj256ELj64EliEEvT2_PKT1_S4_PS1_21rocsparse_index_base_.numbered_sgpr, 20
	.set _ZN9rocsparseL14csr2coo_kernelILj256ELj64EliEEvT2_PKT1_S4_PS1_21rocsparse_index_base_.num_named_barrier, 0
	.set _ZN9rocsparseL14csr2coo_kernelILj256ELj64EliEEvT2_PKT1_S4_PS1_21rocsparse_index_base_.private_seg_size, 0
	.set _ZN9rocsparseL14csr2coo_kernelILj256ELj64EliEEvT2_PKT1_S4_PS1_21rocsparse_index_base_.uses_vcc, 1
	.set _ZN9rocsparseL14csr2coo_kernelILj256ELj64EliEEvT2_PKT1_S4_PS1_21rocsparse_index_base_.uses_flat_scratch, 0
	.set _ZN9rocsparseL14csr2coo_kernelILj256ELj64EliEEvT2_PKT1_S4_PS1_21rocsparse_index_base_.has_dyn_sized_stack, 0
	.set _ZN9rocsparseL14csr2coo_kernelILj256ELj64EliEEvT2_PKT1_S4_PS1_21rocsparse_index_base_.has_recursion, 0
	.set _ZN9rocsparseL14csr2coo_kernelILj256ELj64EliEEvT2_PKT1_S4_PS1_21rocsparse_index_base_.has_indirect_call, 0
	.section	.AMDGPU.csdata,"",@progbits
; Kernel info:
; codeLenInByte = 1476
; TotalNumSgprs: 26
; NumVgprs: 10
; NumAgprs: 0
; TotalNumVgprs: 10
; ScratchSize: 0
; MemoryBound: 0
; FloatMode: 240
; IeeeMode: 1
; LDSByteSize: 20 bytes/workgroup (compile time only)
; SGPRBlocks: 3
; VGPRBlocks: 1
; NumSGPRsForWavesPerEU: 26
; NumVGPRsForWavesPerEU: 10
; AccumOffset: 12
; Occupancy: 8
; WaveLimiterHint : 0
; COMPUTE_PGM_RSRC2:SCRATCH_EN: 0
; COMPUTE_PGM_RSRC2:USER_SGPR: 2
; COMPUTE_PGM_RSRC2:TRAP_HANDLER: 0
; COMPUTE_PGM_RSRC2:TGID_X_EN: 1
; COMPUTE_PGM_RSRC2:TGID_Y_EN: 0
; COMPUTE_PGM_RSRC2:TGID_Z_EN: 0
; COMPUTE_PGM_RSRC2:TIDIG_COMP_CNT: 0
; COMPUTE_PGM_RSRC3_GFX90A:ACCUM_OFFSET: 2
; COMPUTE_PGM_RSRC3_GFX90A:TG_SPLIT: 0
	.section	.text._ZN9rocsparseL14csr2coo_kernelILj256ELj128EliEEvT2_PKT1_S4_PS1_21rocsparse_index_base_,"axG",@progbits,_ZN9rocsparseL14csr2coo_kernelILj256ELj128EliEEvT2_PKT1_S4_PS1_21rocsparse_index_base_,comdat
	.globl	_ZN9rocsparseL14csr2coo_kernelILj256ELj128EliEEvT2_PKT1_S4_PS1_21rocsparse_index_base_ ; -- Begin function _ZN9rocsparseL14csr2coo_kernelILj256ELj128EliEEvT2_PKT1_S4_PS1_21rocsparse_index_base_
	.p2align	8
	.type	_ZN9rocsparseL14csr2coo_kernelILj256ELj128EliEEvT2_PKT1_S4_PS1_21rocsparse_index_base_,@function
_ZN9rocsparseL14csr2coo_kernelILj256ELj128EliEEvT2_PKT1_S4_PS1_21rocsparse_index_base_: ; @_ZN9rocsparseL14csr2coo_kernelILj256ELj128EliEEvT2_PKT1_S4_PS1_21rocsparse_index_base_
; %bb.0:
	s_load_dword s21, s[0:1], 0x0
	s_load_dwordx4 s[4:7], s[0:1], 0x8
	s_load_dwordx2 s[8:9], s[0:1], 0x18
	s_load_dword s20, s[0:1], 0x20
	v_lshrrev_b32_e32 v1, 7, v0
	s_lshl_b32 s2, s2, 1
	v_mov_b32_e32 v2, 1
	v_mov_b32_e32 v3, 0
	v_or_b32_e32 v4, s2, v1
	ds_write_b32 v3, v2 offset:8
	s_waitcnt lgkmcnt(0)
	v_cmp_gt_i32_e32 vcc, s21, v4
	v_mov_b64_e32 v[2:3], 0
	v_ashrrev_i32_e32 v5, 31, v4
	v_mov_b64_e32 v[6:7], 0
	s_barrier
	s_and_saveexec_b64 s[10:11], vcc
	s_cbranch_execz .LBB14_2
; %bb.1:
	v_lshl_add_u64 v[6:7], v[4:5], 3, s[4:5]
	global_load_dwordx2 v[6:7], v[6:7], off
	s_waitcnt vmcnt(0)
	v_subrev_co_u32_e64 v6, s[0:1], s20, v6
	s_nop 1
	v_subbrev_co_u32_e64 v7, s[0:1], 0, v7, s[0:1]
.LBB14_2:
	s_or_b64 exec, exec, s[10:11]
	s_and_saveexec_b64 s[0:1], vcc
	s_cbranch_execz .LBB14_4
; %bb.3:
	v_lshl_add_u64 v[2:3], v[4:5], 3, s[6:7]
	global_load_dwordx2 v[2:3], v[2:3], off
	s_waitcnt vmcnt(0)
	v_subrev_co_u32_e32 v2, vcc, s20, v2
	s_nop 1
	v_subbrev_co_u32_e32 v3, vcc, 0, v3, vcc
.LBB14_4:
	s_or_b64 exec, exec, s[0:1]
	v_sub_co_u32_e32 v8, vcc, v2, v6
	s_mov_b64 s[0:1], 0x401
	s_nop 0
	v_subb_co_u32_e32 v9, vcc, v3, v7, vcc
	v_cmp_gt_i64_e32 vcc, s[0:1], v[8:9]
	s_mov_b64 s[0:1], 0x400
	v_cmp_lt_i64_e64 s[0:1], s[0:1], v[8:9]
	s_and_saveexec_b64 s[10:11], s[0:1]
	s_xor_b64 s[0:1], exec, s[10:11]
; %bb.5:
	v_mov_b32_e32 v2, 0
	ds_write_b32 v2, v2 offset:8
                                        ; implicit-def: $vgpr6_vgpr7
                                        ; implicit-def: $vgpr2_vgpr3
                                        ; implicit-def: $vgpr4
; %bb.6:
	s_andn2_saveexec_b64 s[10:11], s[0:1]
	s_cbranch_execz .LBB14_11
; %bb.7:
	v_and_b32_e32 v8, 0x7f, v0
	v_mov_b32_e32 v9, 0
	v_lshl_add_u64 v[6:7], v[6:7], 0, v[8:9]
	v_cmp_lt_i64_e64 s[0:1], v[6:7], v[2:3]
	s_and_saveexec_b64 s[12:13], s[0:1]
	s_cbranch_execz .LBB14_10
; %bb.8:
	v_add_u32_e32 v8, s20, v4
	v_lshl_add_u64 v[4:5], v[6:7], 2, s[8:9]
	s_mov_b64 s[14:15], 0
	s_mov_b64 s[16:17], 0x80
	;; [unrolled: 1-line block ×3, first 2 shown]
.LBB14_9:                               ; =>This Inner Loop Header: Depth=1
	v_lshl_add_u64 v[6:7], v[6:7], 0, s[16:17]
	v_cmp_ge_i64_e64 s[0:1], v[6:7], v[2:3]
	global_store_dword v[4:5], v8, off
	s_or_b64 s[14:15], s[0:1], s[14:15]
	v_lshl_add_u64 v[4:5], v[4:5], 0, s[18:19]
	s_andn2_b64 exec, exec, s[14:15]
	s_cbranch_execnz .LBB14_9
.LBB14_10:
	s_or_b64 exec, exec, s[12:13]
.LBB14_11:
	s_or_b64 exec, exec, s[10:11]
	v_cndmask_b32_e64 v2, 0, 1, vcc
	v_lshlrev_b32_e32 v1, 2, v1
	ds_write_b32 v1, v2
	v_mov_b32_e32 v1, 0
	s_waitcnt lgkmcnt(0)
	s_barrier
	ds_read_b32 v2, v1 offset:8
	s_waitcnt lgkmcnt(0)
	v_cmp_ne_u32_e32 vcc, 0, v2
	s_cbranch_vccnz .LBB14_29
; %bb.12:
	ds_read_b32 v2, v1
	s_waitcnt lgkmcnt(0)
	v_cmp_ne_u32_e32 vcc, 0, v2
	s_cbranch_vccnz .LBB14_21
; %bb.13:
	s_cmp_lt_i32 s2, s21
	s_mov_b64 s[0:1], 0
	s_cselect_b64 s[12:13], -1, 0
	s_cmp_ge_i32 s2, s21
	s_mov_b64 s[10:11], 0
	s_cbranch_scc0 .LBB14_16
; %bb.14:
	s_andn2_b64 vcc, exec, s[12:13]
	s_cbranch_vccz .LBB14_17
.LBB14_15:
	v_lshl_add_u64 v[2:3], s[10:11], 0, v[0:1]
	v_cmp_gt_i64_e32 vcc, s[0:1], v[2:3]
	s_and_saveexec_b64 s[10:11], vcc
	s_cbranch_execnz .LBB14_18
	s_branch .LBB14_20
.LBB14_16:
	s_ashr_i32 s3, s2, 31
	s_lshl_b64 s[10:11], s[2:3], 3
	s_add_u32 s10, s4, s10
	s_addc_u32 s11, s5, s11
	s_load_dwordx2 s[10:11], s[10:11], 0x0
	s_waitcnt lgkmcnt(0)
	s_sub_u32 s10, s10, s20
	s_subb_u32 s11, s11, 0
	s_andn2_b64 vcc, exec, s[12:13]
	s_cbranch_vccnz .LBB14_15
.LBB14_17:
	s_ashr_i32 s3, s2, 31
	s_lshl_b64 s[0:1], s[2:3], 3
	s_add_u32 s0, s6, s0
	s_addc_u32 s1, s7, s1
	s_load_dwordx2 s[0:1], s[0:1], 0x0
	s_waitcnt lgkmcnt(0)
	s_sub_u32 s0, s0, s20
	s_subb_u32 s1, s1, 0
	v_lshl_add_u64 v[2:3], s[10:11], 0, v[0:1]
	v_cmp_gt_i64_e32 vcc, s[0:1], v[2:3]
	s_and_saveexec_b64 s[10:11], vcc
	s_cbranch_execz .LBB14_20
.LBB14_18:
	s_add_i32 s3, s2, s20
	v_lshl_add_u64 v[4:5], v[2:3], 2, s[8:9]
	s_mov_b64 s[12:13], 0
	v_mov_b32_e32 v6, s3
	s_mov_b64 s[14:15], 0x100
	s_mov_b64 s[16:17], 0x400
.LBB14_19:                              ; =>This Inner Loop Header: Depth=1
	v_lshl_add_u64 v[2:3], v[2:3], 0, s[14:15]
	v_cmp_le_i64_e32 vcc, s[0:1], v[2:3]
	global_store_dword v[4:5], v6, off
	s_or_b64 s[12:13], vcc, s[12:13]
	v_lshl_add_u64 v[4:5], v[4:5], 0, s[16:17]
	s_andn2_b64 exec, exec, s[12:13]
	s_cbranch_execnz .LBB14_19
.LBB14_20:
	s_or_b64 exec, exec, s[10:11]
.LBB14_21:
	v_mov_b32_e32 v2, 0
	ds_read_b32 v2, v2 offset:4
	s_waitcnt lgkmcnt(0)
	v_cmp_ne_u32_e32 vcc, 0, v2
	s_cbranch_vccnz .LBB14_29
; %bb.22:
	s_or_b32 s14, s2, 1
	s_cmp_lt_i32 s14, s21
	s_mov_b64 s[0:1], 0
	s_cselect_b64 s[12:13], -1, 0
	s_cmp_ge_i32 s14, s21
	s_mov_b64 s[10:11], 0
	s_cbranch_scc0 .LBB14_25
; %bb.23:
	s_andn2_b64 vcc, exec, s[12:13]
	s_cbranch_vccz .LBB14_26
.LBB14_24:
	v_lshl_add_u64 v[0:1], s[10:11], 0, v[0:1]
	v_cmp_gt_i64_e32 vcc, s[0:1], v[0:1]
	s_and_saveexec_b64 s[2:3], vcc
	s_cbranch_execnz .LBB14_27
	s_branch .LBB14_29
.LBB14_25:
	s_ashr_i32 s3, s2, 31
	s_lshl_b64 s[10:11], s[2:3], 3
	s_add_u32 s4, s4, s10
	s_addc_u32 s5, s5, s11
	s_load_dwordx2 s[4:5], s[4:5], 0x8
	s_waitcnt lgkmcnt(0)
	s_sub_u32 s10, s4, s20
	s_subb_u32 s11, s5, 0
	s_andn2_b64 vcc, exec, s[12:13]
	s_cbranch_vccnz .LBB14_24
.LBB14_26:
	s_ashr_i32 s3, s2, 31
	s_lshl_b64 s[0:1], s[2:3], 3
	s_add_u32 s0, s6, s0
	s_addc_u32 s1, s7, s1
	s_load_dwordx2 s[0:1], s[0:1], 0x8
	s_waitcnt lgkmcnt(0)
	s_sub_u32 s0, s0, s20
	s_subb_u32 s1, s1, 0
	v_lshl_add_u64 v[0:1], s[10:11], 0, v[0:1]
	v_cmp_gt_i64_e32 vcc, s[0:1], v[0:1]
	s_and_saveexec_b64 s[2:3], vcc
	s_cbranch_execz .LBB14_29
.LBB14_27:
	s_add_i32 s4, s14, s20
	v_lshl_add_u64 v[2:3], v[0:1], 2, s[8:9]
	s_mov_b64 s[2:3], 0
	v_mov_b32_e32 v4, s4
	s_mov_b64 s[4:5], 0x100
	s_mov_b64 s[6:7], 0x400
.LBB14_28:                              ; =>This Inner Loop Header: Depth=1
	v_lshl_add_u64 v[0:1], v[0:1], 0, s[4:5]
	v_cmp_le_i64_e32 vcc, s[0:1], v[0:1]
	global_store_dword v[2:3], v4, off
	s_or_b64 s[2:3], vcc, s[2:3]
	v_lshl_add_u64 v[2:3], v[2:3], 0, s[6:7]
	s_andn2_b64 exec, exec, s[2:3]
	s_cbranch_execnz .LBB14_28
.LBB14_29:
	s_endpgm
	.section	.rodata,"a",@progbits
	.p2align	6, 0x0
	.amdhsa_kernel _ZN9rocsparseL14csr2coo_kernelILj256ELj128EliEEvT2_PKT1_S4_PS1_21rocsparse_index_base_
		.amdhsa_group_segment_fixed_size 12
		.amdhsa_private_segment_fixed_size 0
		.amdhsa_kernarg_size 36
		.amdhsa_user_sgpr_count 2
		.amdhsa_user_sgpr_dispatch_ptr 0
		.amdhsa_user_sgpr_queue_ptr 0
		.amdhsa_user_sgpr_kernarg_segment_ptr 1
		.amdhsa_user_sgpr_dispatch_id 0
		.amdhsa_user_sgpr_kernarg_preload_length 0
		.amdhsa_user_sgpr_kernarg_preload_offset 0
		.amdhsa_user_sgpr_private_segment_size 0
		.amdhsa_uses_dynamic_stack 0
		.amdhsa_enable_private_segment 0
		.amdhsa_system_sgpr_workgroup_id_x 1
		.amdhsa_system_sgpr_workgroup_id_y 0
		.amdhsa_system_sgpr_workgroup_id_z 0
		.amdhsa_system_sgpr_workgroup_info 0
		.amdhsa_system_vgpr_workitem_id 0
		.amdhsa_next_free_vgpr 10
		.amdhsa_next_free_sgpr 22
		.amdhsa_accum_offset 12
		.amdhsa_reserve_vcc 1
		.amdhsa_float_round_mode_32 0
		.amdhsa_float_round_mode_16_64 0
		.amdhsa_float_denorm_mode_32 3
		.amdhsa_float_denorm_mode_16_64 3
		.amdhsa_dx10_clamp 1
		.amdhsa_ieee_mode 1
		.amdhsa_fp16_overflow 0
		.amdhsa_tg_split 0
		.amdhsa_exception_fp_ieee_invalid_op 0
		.amdhsa_exception_fp_denorm_src 0
		.amdhsa_exception_fp_ieee_div_zero 0
		.amdhsa_exception_fp_ieee_overflow 0
		.amdhsa_exception_fp_ieee_underflow 0
		.amdhsa_exception_fp_ieee_inexact 0
		.amdhsa_exception_int_div_zero 0
	.end_amdhsa_kernel
	.section	.text._ZN9rocsparseL14csr2coo_kernelILj256ELj128EliEEvT2_PKT1_S4_PS1_21rocsparse_index_base_,"axG",@progbits,_ZN9rocsparseL14csr2coo_kernelILj256ELj128EliEEvT2_PKT1_S4_PS1_21rocsparse_index_base_,comdat
.Lfunc_end14:
	.size	_ZN9rocsparseL14csr2coo_kernelILj256ELj128EliEEvT2_PKT1_S4_PS1_21rocsparse_index_base_, .Lfunc_end14-_ZN9rocsparseL14csr2coo_kernelILj256ELj128EliEEvT2_PKT1_S4_PS1_21rocsparse_index_base_
                                        ; -- End function
	.set _ZN9rocsparseL14csr2coo_kernelILj256ELj128EliEEvT2_PKT1_S4_PS1_21rocsparse_index_base_.num_vgpr, 10
	.set _ZN9rocsparseL14csr2coo_kernelILj256ELj128EliEEvT2_PKT1_S4_PS1_21rocsparse_index_base_.num_agpr, 0
	.set _ZN9rocsparseL14csr2coo_kernelILj256ELj128EliEEvT2_PKT1_S4_PS1_21rocsparse_index_base_.numbered_sgpr, 22
	.set _ZN9rocsparseL14csr2coo_kernelILj256ELj128EliEEvT2_PKT1_S4_PS1_21rocsparse_index_base_.num_named_barrier, 0
	.set _ZN9rocsparseL14csr2coo_kernelILj256ELj128EliEEvT2_PKT1_S4_PS1_21rocsparse_index_base_.private_seg_size, 0
	.set _ZN9rocsparseL14csr2coo_kernelILj256ELj128EliEEvT2_PKT1_S4_PS1_21rocsparse_index_base_.uses_vcc, 1
	.set _ZN9rocsparseL14csr2coo_kernelILj256ELj128EliEEvT2_PKT1_S4_PS1_21rocsparse_index_base_.uses_flat_scratch, 0
	.set _ZN9rocsparseL14csr2coo_kernelILj256ELj128EliEEvT2_PKT1_S4_PS1_21rocsparse_index_base_.has_dyn_sized_stack, 0
	.set _ZN9rocsparseL14csr2coo_kernelILj256ELj128EliEEvT2_PKT1_S4_PS1_21rocsparse_index_base_.has_recursion, 0
	.set _ZN9rocsparseL14csr2coo_kernelILj256ELj128EliEEvT2_PKT1_S4_PS1_21rocsparse_index_base_.has_indirect_call, 0
	.section	.AMDGPU.csdata,"",@progbits
; Kernel info:
; codeLenInByte = 940
; TotalNumSgprs: 28
; NumVgprs: 10
; NumAgprs: 0
; TotalNumVgprs: 10
; ScratchSize: 0
; MemoryBound: 0
; FloatMode: 240
; IeeeMode: 1
; LDSByteSize: 12 bytes/workgroup (compile time only)
; SGPRBlocks: 3
; VGPRBlocks: 1
; NumSGPRsForWavesPerEU: 28
; NumVGPRsForWavesPerEU: 10
; AccumOffset: 12
; Occupancy: 8
; WaveLimiterHint : 0
; COMPUTE_PGM_RSRC2:SCRATCH_EN: 0
; COMPUTE_PGM_RSRC2:USER_SGPR: 2
; COMPUTE_PGM_RSRC2:TRAP_HANDLER: 0
; COMPUTE_PGM_RSRC2:TGID_X_EN: 1
; COMPUTE_PGM_RSRC2:TGID_Y_EN: 0
; COMPUTE_PGM_RSRC2:TGID_Z_EN: 0
; COMPUTE_PGM_RSRC2:TIDIG_COMP_CNT: 0
; COMPUTE_PGM_RSRC3_GFX90A:ACCUM_OFFSET: 2
; COMPUTE_PGM_RSRC3_GFX90A:TG_SPLIT: 0
	.section	.text._ZN9rocsparseL14csr2coo_kernelILj256ELj256EliEEvT2_PKT1_S4_PS1_21rocsparse_index_base_,"axG",@progbits,_ZN9rocsparseL14csr2coo_kernelILj256ELj256EliEEvT2_PKT1_S4_PS1_21rocsparse_index_base_,comdat
	.globl	_ZN9rocsparseL14csr2coo_kernelILj256ELj256EliEEvT2_PKT1_S4_PS1_21rocsparse_index_base_ ; -- Begin function _ZN9rocsparseL14csr2coo_kernelILj256ELj256EliEEvT2_PKT1_S4_PS1_21rocsparse_index_base_
	.p2align	8
	.type	_ZN9rocsparseL14csr2coo_kernelILj256ELj256EliEEvT2_PKT1_S4_PS1_21rocsparse_index_base_,@function
_ZN9rocsparseL14csr2coo_kernelILj256ELj256EliEEvT2_PKT1_S4_PS1_21rocsparse_index_base_: ; @_ZN9rocsparseL14csr2coo_kernelILj256ELj256EliEEvT2_PKT1_S4_PS1_21rocsparse_index_base_
; %bb.0:
	s_load_dword s21, s[0:1], 0x0
	s_load_dwordx4 s[4:7], s[0:1], 0x8
	s_load_dwordx2 s[8:9], s[0:1], 0x18
	s_load_dword s20, s[0:1], 0x20
	v_mov_b32_e32 v1, 0
	v_mov_b32_e32 v2, 1
	s_waitcnt lgkmcnt(0)
	s_cmp_lt_i32 s2, s21
	ds_write_b32 v1, v2 offset:4
	v_mov_b32_e32 v4, s2
	s_cselect_b64 s[0:1], -1, 0
	v_mov_b64_e32 v[2:3], 0
	v_ashrrev_i32_e64 v5, 31, s2
	v_mov_b64_e32 v[6:7], 0
	s_waitcnt lgkmcnt(0)
	s_barrier
	s_and_saveexec_b64 s[10:11], s[0:1]
	s_cbranch_execz .LBB15_2
; %bb.1:
	v_lshl_add_u64 v[6:7], v[4:5], 3, s[4:5]
	global_load_dwordx2 v[6:7], v[6:7], off
	s_waitcnt vmcnt(0)
	v_subrev_co_u32_e32 v6, vcc, s20, v6
	s_nop 1
	v_subbrev_co_u32_e32 v7, vcc, 0, v7, vcc
.LBB15_2:
	s_or_b64 exec, exec, s[10:11]
	s_and_saveexec_b64 s[10:11], s[0:1]
	s_cbranch_execz .LBB15_4
; %bb.3:
	v_lshl_add_u64 v[2:3], v[4:5], 3, s[6:7]
	global_load_dwordx2 v[2:3], v[2:3], off
	s_waitcnt vmcnt(0)
	v_subrev_co_u32_e32 v2, vcc, s20, v2
	s_nop 1
	v_subbrev_co_u32_e32 v3, vcc, 0, v3, vcc
.LBB15_4:
	s_or_b64 exec, exec, s[10:11]
	v_sub_co_u32_e32 v8, vcc, v2, v6
	s_mov_b64 s[0:1], 0x801
	s_nop 0
	v_subb_co_u32_e32 v9, vcc, v3, v7, vcc
	v_cmp_gt_i64_e32 vcc, s[0:1], v[8:9]
	s_mov_b64 s[0:1], 0x800
	v_cmp_lt_i64_e64 s[0:1], s[0:1], v[8:9]
	s_and_saveexec_b64 s[10:11], s[0:1]
	s_xor_b64 s[0:1], exec, s[10:11]
; %bb.5:
	v_mov_b32_e32 v1, 0
	ds_write_b32 v1, v1 offset:4
                                        ; implicit-def: $vgpr6_vgpr7
                                        ; implicit-def: $vgpr2_vgpr3
                                        ; implicit-def: $vgpr4
; %bb.6:
	s_andn2_saveexec_b64 s[10:11], s[0:1]
	s_cbranch_execz .LBB15_11
; %bb.7:
	v_mov_b32_e32 v1, 0
	v_lshl_add_u64 v[6:7], v[6:7], 0, v[0:1]
	v_cmp_lt_i64_e64 s[0:1], v[6:7], v[2:3]
	s_and_saveexec_b64 s[12:13], s[0:1]
	s_cbranch_execz .LBB15_10
; %bb.8:
	v_add_u32_e32 v1, s20, v4
	v_lshl_add_u64 v[4:5], v[6:7], 2, s[8:9]
	s_mov_b64 s[14:15], 0
	s_mov_b64 s[16:17], 0x100
	;; [unrolled: 1-line block ×3, first 2 shown]
.LBB15_9:                               ; =>This Inner Loop Header: Depth=1
	v_lshl_add_u64 v[6:7], v[6:7], 0, s[16:17]
	v_cmp_ge_i64_e64 s[0:1], v[6:7], v[2:3]
	global_store_dword v[4:5], v1, off
	s_or_b64 s[14:15], s[0:1], s[14:15]
	v_lshl_add_u64 v[4:5], v[4:5], 0, s[18:19]
	s_andn2_b64 exec, exec, s[14:15]
	s_cbranch_execnz .LBB15_9
.LBB15_10:
	s_or_b64 exec, exec, s[12:13]
.LBB15_11:
	s_or_b64 exec, exec, s[10:11]
	v_cndmask_b32_e64 v2, 0, 1, vcc
	v_mov_b32_e32 v1, 0
	ds_write_b32 v1, v2
	s_waitcnt lgkmcnt(0)
	s_barrier
	ds_read_b32 v2, v1 offset:4
	s_waitcnt lgkmcnt(0)
	v_cmp_ne_u32_e32 vcc, 0, v2
	s_cbranch_vccnz .LBB15_20
; %bb.12:
	ds_read_b32 v1, v1
	s_waitcnt lgkmcnt(0)
	v_cmp_ne_u32_e32 vcc, 0, v1
	s_cbranch_vccnz .LBB15_20
; %bb.13:
	s_cmp_lt_i32 s2, s21
	s_cselect_b64 s[12:13], -1, 0
	s_ashr_i32 s3, s2, 31
	s_cmp_ge_i32 s2, s21
	s_mov_b64 s[0:1], 0
	s_mov_b64 s[10:11], 0
	s_cbranch_scc1 .LBB15_15
; %bb.14:
	s_lshl_b64 s[10:11], s[2:3], 3
	s_add_u32 s4, s4, s10
	s_addc_u32 s5, s5, s11
	s_load_dwordx2 s[4:5], s[4:5], 0x0
	s_waitcnt lgkmcnt(0)
	s_sub_u32 s10, s4, s20
	s_subb_u32 s11, s5, 0
.LBB15_15:
	s_andn2_b64 vcc, exec, s[12:13]
	s_cbranch_vccnz .LBB15_17
; %bb.16:
	s_lshl_b64 s[0:1], s[2:3], 3
	s_add_u32 s0, s6, s0
	s_addc_u32 s1, s7, s1
	s_load_dwordx2 s[0:1], s[0:1], 0x0
	s_waitcnt lgkmcnt(0)
	s_sub_u32 s0, s0, s20
	s_subb_u32 s1, s1, 0
.LBB15_17:
	v_mov_b32_e32 v1, 0
	v_lshl_add_u64 v[0:1], s[10:11], 0, v[0:1]
	v_cmp_gt_i64_e32 vcc, s[0:1], v[0:1]
	s_and_saveexec_b64 s[4:5], vcc
	s_cbranch_execz .LBB15_20
; %bb.18:
	s_add_i32 s4, s20, s2
	v_lshl_add_u64 v[2:3], v[0:1], 2, s[8:9]
	s_mov_b64 s[2:3], 0
	v_mov_b32_e32 v4, s4
	s_mov_b64 s[4:5], 0x100
	s_mov_b64 s[6:7], 0x400
.LBB15_19:                              ; =>This Inner Loop Header: Depth=1
	v_lshl_add_u64 v[0:1], v[0:1], 0, s[4:5]
	v_cmp_le_i64_e32 vcc, s[0:1], v[0:1]
	global_store_dword v[2:3], v4, off
	s_or_b64 s[2:3], vcc, s[2:3]
	v_lshl_add_u64 v[2:3], v[2:3], 0, s[6:7]
	s_andn2_b64 exec, exec, s[2:3]
	s_cbranch_execnz .LBB15_19
.LBB15_20:
	s_endpgm
	.section	.rodata,"a",@progbits
	.p2align	6, 0x0
	.amdhsa_kernel _ZN9rocsparseL14csr2coo_kernelILj256ELj256EliEEvT2_PKT1_S4_PS1_21rocsparse_index_base_
		.amdhsa_group_segment_fixed_size 8
		.amdhsa_private_segment_fixed_size 0
		.amdhsa_kernarg_size 36
		.amdhsa_user_sgpr_count 2
		.amdhsa_user_sgpr_dispatch_ptr 0
		.amdhsa_user_sgpr_queue_ptr 0
		.amdhsa_user_sgpr_kernarg_segment_ptr 1
		.amdhsa_user_sgpr_dispatch_id 0
		.amdhsa_user_sgpr_kernarg_preload_length 0
		.amdhsa_user_sgpr_kernarg_preload_offset 0
		.amdhsa_user_sgpr_private_segment_size 0
		.amdhsa_uses_dynamic_stack 0
		.amdhsa_enable_private_segment 0
		.amdhsa_system_sgpr_workgroup_id_x 1
		.amdhsa_system_sgpr_workgroup_id_y 0
		.amdhsa_system_sgpr_workgroup_id_z 0
		.amdhsa_system_sgpr_workgroup_info 0
		.amdhsa_system_vgpr_workitem_id 0
		.amdhsa_next_free_vgpr 10
		.amdhsa_next_free_sgpr 22
		.amdhsa_accum_offset 12
		.amdhsa_reserve_vcc 1
		.amdhsa_float_round_mode_32 0
		.amdhsa_float_round_mode_16_64 0
		.amdhsa_float_denorm_mode_32 3
		.amdhsa_float_denorm_mode_16_64 3
		.amdhsa_dx10_clamp 1
		.amdhsa_ieee_mode 1
		.amdhsa_fp16_overflow 0
		.amdhsa_tg_split 0
		.amdhsa_exception_fp_ieee_invalid_op 0
		.amdhsa_exception_fp_denorm_src 0
		.amdhsa_exception_fp_ieee_div_zero 0
		.amdhsa_exception_fp_ieee_overflow 0
		.amdhsa_exception_fp_ieee_underflow 0
		.amdhsa_exception_fp_ieee_inexact 0
		.amdhsa_exception_int_div_zero 0
	.end_amdhsa_kernel
	.section	.text._ZN9rocsparseL14csr2coo_kernelILj256ELj256EliEEvT2_PKT1_S4_PS1_21rocsparse_index_base_,"axG",@progbits,_ZN9rocsparseL14csr2coo_kernelILj256ELj256EliEEvT2_PKT1_S4_PS1_21rocsparse_index_base_,comdat
.Lfunc_end15:
	.size	_ZN9rocsparseL14csr2coo_kernelILj256ELj256EliEEvT2_PKT1_S4_PS1_21rocsparse_index_base_, .Lfunc_end15-_ZN9rocsparseL14csr2coo_kernelILj256ELj256EliEEvT2_PKT1_S4_PS1_21rocsparse_index_base_
                                        ; -- End function
	.set _ZN9rocsparseL14csr2coo_kernelILj256ELj256EliEEvT2_PKT1_S4_PS1_21rocsparse_index_base_.num_vgpr, 10
	.set _ZN9rocsparseL14csr2coo_kernelILj256ELj256EliEEvT2_PKT1_S4_PS1_21rocsparse_index_base_.num_agpr, 0
	.set _ZN9rocsparseL14csr2coo_kernelILj256ELj256EliEEvT2_PKT1_S4_PS1_21rocsparse_index_base_.numbered_sgpr, 22
	.set _ZN9rocsparseL14csr2coo_kernelILj256ELj256EliEEvT2_PKT1_S4_PS1_21rocsparse_index_base_.num_named_barrier, 0
	.set _ZN9rocsparseL14csr2coo_kernelILj256ELj256EliEEvT2_PKT1_S4_PS1_21rocsparse_index_base_.private_seg_size, 0
	.set _ZN9rocsparseL14csr2coo_kernelILj256ELj256EliEEvT2_PKT1_S4_PS1_21rocsparse_index_base_.uses_vcc, 1
	.set _ZN9rocsparseL14csr2coo_kernelILj256ELj256EliEEvT2_PKT1_S4_PS1_21rocsparse_index_base_.uses_flat_scratch, 0
	.set _ZN9rocsparseL14csr2coo_kernelILj256ELj256EliEEvT2_PKT1_S4_PS1_21rocsparse_index_base_.has_dyn_sized_stack, 0
	.set _ZN9rocsparseL14csr2coo_kernelILj256ELj256EliEEvT2_PKT1_S4_PS1_21rocsparse_index_base_.has_recursion, 0
	.set _ZN9rocsparseL14csr2coo_kernelILj256ELj256EliEEvT2_PKT1_S4_PS1_21rocsparse_index_base_.has_indirect_call, 0
	.section	.AMDGPU.csdata,"",@progbits
; Kernel info:
; codeLenInByte = 628
; TotalNumSgprs: 28
; NumVgprs: 10
; NumAgprs: 0
; TotalNumVgprs: 10
; ScratchSize: 0
; MemoryBound: 0
; FloatMode: 240
; IeeeMode: 1
; LDSByteSize: 8 bytes/workgroup (compile time only)
; SGPRBlocks: 3
; VGPRBlocks: 1
; NumSGPRsForWavesPerEU: 28
; NumVGPRsForWavesPerEU: 10
; AccumOffset: 12
; Occupancy: 8
; WaveLimiterHint : 0
; COMPUTE_PGM_RSRC2:SCRATCH_EN: 0
; COMPUTE_PGM_RSRC2:USER_SGPR: 2
; COMPUTE_PGM_RSRC2:TRAP_HANDLER: 0
; COMPUTE_PGM_RSRC2:TGID_X_EN: 1
; COMPUTE_PGM_RSRC2:TGID_Y_EN: 0
; COMPUTE_PGM_RSRC2:TGID_Z_EN: 0
; COMPUTE_PGM_RSRC2:TIDIG_COMP_CNT: 0
; COMPUTE_PGM_RSRC3_GFX90A:ACCUM_OFFSET: 2
; COMPUTE_PGM_RSRC3_GFX90A:TG_SPLIT: 0
	.section	.text._ZN9rocsparseL14csr2coo_kernelILj256ELj2EilEEvT2_PKT1_S4_PS1_21rocsparse_index_base_,"axG",@progbits,_ZN9rocsparseL14csr2coo_kernelILj256ELj2EilEEvT2_PKT1_S4_PS1_21rocsparse_index_base_,comdat
	.globl	_ZN9rocsparseL14csr2coo_kernelILj256ELj2EilEEvT2_PKT1_S4_PS1_21rocsparse_index_base_ ; -- Begin function _ZN9rocsparseL14csr2coo_kernelILj256ELj2EilEEvT2_PKT1_S4_PS1_21rocsparse_index_base_
	.p2align	8
	.type	_ZN9rocsparseL14csr2coo_kernelILj256ELj2EilEEvT2_PKT1_S4_PS1_21rocsparse_index_base_,@function
_ZN9rocsparseL14csr2coo_kernelILj256ELj2EilEEvT2_PKT1_S4_PS1_21rocsparse_index_base_: ; @_ZN9rocsparseL14csr2coo_kernelILj256ELj2EilEEvT2_PKT1_S4_PS1_21rocsparse_index_base_
; %bb.0:
	s_load_dwordx8 s[4:11], s[0:1], 0x0
	s_load_dword s12, s[0:1], 0x20
	v_mov_b32_e32 v2, 1
	v_lshrrev_b32_e32 v1, 1, v0
	v_mov_b32_e32 v6, 0
	s_lshl_b32 s18, s2, 7
	ds_write_b32 v6, v2 offset:512
	v_or_b32_e32 v2, s18, v1
	v_mov_b32_e32 v3, v6
	s_waitcnt lgkmcnt(0)
	v_cmp_gt_i64_e32 vcc, s[4:5], v[2:3]
	v_mov_b32_e32 v4, 0
	s_barrier
	s_and_saveexec_b64 s[0:1], vcc
	s_cbranch_execz .LBB16_2
; %bb.1:
	v_lshl_add_u64 v[4:5], v[2:3], 2, s[6:7]
	global_load_dword v4, v[4:5], off
	s_waitcnt vmcnt(0)
	v_subrev_u32_e32 v4, s12, v4
.LBB16_2:
	s_or_b64 exec, exec, s[0:1]
	s_and_saveexec_b64 s[0:1], vcc
	s_cbranch_execz .LBB16_4
; %bb.3:
	v_lshl_add_u64 v[6:7], v[2:3], 2, s[8:9]
	global_load_dword v5, v[6:7], off
	s_waitcnt vmcnt(0)
	v_subrev_u32_e32 v6, s12, v5
.LBB16_4:
	s_or_b64 exec, exec, s[0:1]
	v_sub_u32_e32 v5, v6, v4
	v_cmp_gt_u32_e32 vcc, 17, v5
	v_cmp_lt_u32_e64 s[0:1], 16, v5
	s_and_saveexec_b64 s[2:3], s[0:1]
	s_xor_b64 s[0:1], exec, s[2:3]
; %bb.5:
	v_mov_b32_e32 v2, 0
	ds_write_b32 v2, v2 offset:512
                                        ; implicit-def: $vgpr4
                                        ; implicit-def: $vgpr6
                                        ; implicit-def: $vgpr2_vgpr3
; %bb.6:
	s_andn2_saveexec_b64 s[2:3], s[0:1]
	s_cbranch_execz .LBB16_11
; %bb.7:
	v_and_b32_e32 v5, 1, v0
	v_add_u32_e32 v4, v4, v5
	v_cmp_lt_i32_e64 s[0:1], v4, v6
	s_and_saveexec_b64 s[14:15], s[0:1]
	s_cbranch_execz .LBB16_10
; %bb.8:
	s_mov_b32 s13, 0
	v_lshl_add_u64 v[2:3], v[2:3], 0, s[12:13]
	s_mov_b64 s[16:17], 0
.LBB16_9:                               ; =>This Inner Loop Header: Depth=1
	v_ashrrev_i32_e32 v5, 31, v4
	v_lshl_add_u64 v[8:9], v[4:5], 3, s[10:11]
	v_add_u32_e32 v4, 2, v4
	v_cmp_ge_i32_e64 s[0:1], v4, v6
	s_or_b64 s[16:17], s[0:1], s[16:17]
	global_store_dwordx2 v[8:9], v[2:3], off
	s_andn2_b64 exec, exec, s[16:17]
	s_cbranch_execnz .LBB16_9
.LBB16_10:
	s_or_b64 exec, exec, s[14:15]
.LBB16_11:
	s_or_b64 exec, exec, s[2:3]
	v_cndmask_b32_e64 v2, 0, 1, vcc
	v_lshlrev_b32_e32 v1, 2, v1
	ds_write_b32 v1, v2
	v_mov_b32_e32 v1, 0
	s_waitcnt lgkmcnt(0)
	s_barrier
	ds_read_b32 v1, v1 offset:512
	s_mov_b32 s3, 0
	s_waitcnt lgkmcnt(0)
	v_cmp_ne_u32_e32 vcc, 0, v1
	s_cbranch_vccz .LBB16_13
.LBB16_12:
	s_endpgm
.LBB16_13:
	s_or_b32 s13, s18, 1
	s_mov_b32 s16, 0
	s_branch .LBB16_16
.LBB16_14:                              ;   in Loop: Header=BB16_16 Depth=1
	s_or_b64 exec, exec, s[0:1]
.LBB16_15:                              ;   in Loop: Header=BB16_16 Depth=1
	s_add_i32 s16, s16, 2
	s_cmpk_lg_i32 s16, 0x80
	s_cbranch_scc0 .LBB16_12
.LBB16_16:                              ; =>This Loop Header: Depth=1
                                        ;     Child Loop BB16_23 Depth 2
                                        ;     Child Loop BB16_32 Depth 2
	s_lshl_b32 s17, s16, 2
	v_mov_b32_e32 v1, s17
	ds_read_b32 v1, v1
	s_waitcnt lgkmcnt(0)
	v_cmp_ne_u32_e32 vcc, 0, v1
	s_cbranch_vccnz .LBB16_25
; %bb.17:                               ;   in Loop: Header=BB16_16 Depth=1
	s_or_b32 s2, s16, s18
	v_mov_b64_e32 v[2:3], s[2:3]
	v_cmp_le_i64_e32 vcc, s[4:5], v[2:3]
	v_cmp_gt_i64_e64 s[0:1], s[4:5], v[2:3]
	s_mov_b32 s19, 0
	s_mov_b32 s14, 0
	s_cbranch_vccz .LBB16_20
; %bb.18:                               ;   in Loop: Header=BB16_16 Depth=1
	s_andn2_b64 vcc, exec, s[0:1]
	s_cbranch_vccz .LBB16_21
.LBB16_19:                              ;   in Loop: Header=BB16_16 Depth=1
	v_add_u32_e32 v2, s14, v0
	v_cmp_gt_i32_e32 vcc, s19, v2
	s_and_saveexec_b64 s[0:1], vcc
	s_cbranch_execnz .LBB16_22
	s_branch .LBB16_24
.LBB16_20:                              ;   in Loop: Header=BB16_16 Depth=1
	s_lshl_b64 s[14:15], s[2:3], 2
	s_add_u32 s14, s6, s14
	s_addc_u32 s15, s7, s15
	s_load_dword s14, s[14:15], 0x0
	s_waitcnt lgkmcnt(0)
	s_sub_i32 s14, s14, s12
	s_andn2_b64 vcc, exec, s[0:1]
	s_cbranch_vccnz .LBB16_19
.LBB16_21:                              ;   in Loop: Header=BB16_16 Depth=1
	s_lshl_b64 s[0:1], s[2:3], 2
	s_add_u32 s0, s8, s0
	s_addc_u32 s1, s9, s1
	s_load_dword s0, s[0:1], 0x0
	s_waitcnt lgkmcnt(0)
	s_sub_i32 s19, s0, s12
	v_add_u32_e32 v2, s14, v0
	v_cmp_gt_i32_e32 vcc, s19, v2
	s_and_saveexec_b64 s[0:1], vcc
	s_cbranch_execz .LBB16_24
.LBB16_22:                              ;   in Loop: Header=BB16_16 Depth=1
	s_add_u32 s20, s2, s12
	s_addc_u32 s21, 0, 0
	s_mov_b64 s[14:15], 0
	v_mov_b64_e32 v[4:5], s[20:21]
.LBB16_23:                              ;   Parent Loop BB16_16 Depth=1
                                        ; =>  This Inner Loop Header: Depth=2
	v_ashrrev_i32_e32 v3, 31, v2
	v_lshl_add_u64 v[6:7], v[2:3], 3, s[10:11]
	v_add_u32_e32 v2, 0x100, v2
	v_cmp_le_i32_e32 vcc, s19, v2
	s_or_b64 s[14:15], vcc, s[14:15]
	global_store_dwordx2 v[6:7], v[4:5], off
	s_andn2_b64 exec, exec, s[14:15]
	s_cbranch_execnz .LBB16_23
.LBB16_24:                              ;   in Loop: Header=BB16_16 Depth=1
	s_or_b64 exec, exec, s[0:1]
.LBB16_25:                              ;   in Loop: Header=BB16_16 Depth=1
	v_mov_b32_e32 v1, s17
	ds_read_b32 v1, v1 offset:4
	s_waitcnt lgkmcnt(0)
	v_cmp_ne_u32_e32 vcc, 0, v1
	s_cbranch_vccnz .LBB16_15
; %bb.26:                               ;   in Loop: Header=BB16_16 Depth=1
	s_or_b32 s2, s16, s13
	v_mov_b64_e32 v[2:3], s[2:3]
	v_cmp_le_i64_e32 vcc, s[4:5], v[2:3]
	v_cmp_gt_i64_e64 s[0:1], s[4:5], v[2:3]
	s_mov_b32 s17, 0
	s_mov_b32 s14, 0
	s_cbranch_vccz .LBB16_29
; %bb.27:                               ;   in Loop: Header=BB16_16 Depth=1
	s_andn2_b64 vcc, exec, s[0:1]
	s_cbranch_vccz .LBB16_30
.LBB16_28:                              ;   in Loop: Header=BB16_16 Depth=1
	v_add_u32_e32 v2, s14, v0
	v_cmp_gt_i32_e32 vcc, s17, v2
	s_and_saveexec_b64 s[0:1], vcc
	s_cbranch_execz .LBB16_14
	s_branch .LBB16_31
.LBB16_29:                              ;   in Loop: Header=BB16_16 Depth=1
	s_add_u32 s14, s16, s18
	s_addc_u32 s15, 0, 0
	s_lshl_b64 s[14:15], s[14:15], 2
	s_add_u32 s14, s6, s14
	s_addc_u32 s15, s7, s15
	s_load_dword s14, s[14:15], 0x4
	s_waitcnt lgkmcnt(0)
	s_sub_i32 s14, s14, s12
	s_andn2_b64 vcc, exec, s[0:1]
	s_cbranch_vccnz .LBB16_28
.LBB16_30:                              ;   in Loop: Header=BB16_16 Depth=1
	s_add_u32 s0, s16, s18
	s_addc_u32 s1, 0, 0
	s_lshl_b64 s[0:1], s[0:1], 2
	s_add_u32 s0, s8, s0
	s_addc_u32 s1, s9, s1
	s_load_dword s0, s[0:1], 0x4
	s_waitcnt lgkmcnt(0)
	s_sub_i32 s17, s0, s12
	v_add_u32_e32 v2, s14, v0
	v_cmp_gt_i32_e32 vcc, s17, v2
	s_and_saveexec_b64 s[0:1], vcc
	s_cbranch_execz .LBB16_14
.LBB16_31:                              ;   in Loop: Header=BB16_16 Depth=1
	s_add_u32 s20, s2, s12
	s_addc_u32 s21, 0, 0
	s_mov_b64 s[14:15], 0
	v_mov_b64_e32 v[4:5], s[20:21]
.LBB16_32:                              ;   Parent Loop BB16_16 Depth=1
                                        ; =>  This Inner Loop Header: Depth=2
	v_ashrrev_i32_e32 v3, 31, v2
	v_lshl_add_u64 v[6:7], v[2:3], 3, s[10:11]
	v_add_u32_e32 v2, 0x100, v2
	v_cmp_le_i32_e32 vcc, s17, v2
	s_or_b64 s[14:15], vcc, s[14:15]
	global_store_dwordx2 v[6:7], v[4:5], off
	s_andn2_b64 exec, exec, s[14:15]
	s_cbranch_execnz .LBB16_32
	s_branch .LBB16_14
	.section	.rodata,"a",@progbits
	.p2align	6, 0x0
	.amdhsa_kernel _ZN9rocsparseL14csr2coo_kernelILj256ELj2EilEEvT2_PKT1_S4_PS1_21rocsparse_index_base_
		.amdhsa_group_segment_fixed_size 516
		.amdhsa_private_segment_fixed_size 0
		.amdhsa_kernarg_size 36
		.amdhsa_user_sgpr_count 2
		.amdhsa_user_sgpr_dispatch_ptr 0
		.amdhsa_user_sgpr_queue_ptr 0
		.amdhsa_user_sgpr_kernarg_segment_ptr 1
		.amdhsa_user_sgpr_dispatch_id 0
		.amdhsa_user_sgpr_kernarg_preload_length 0
		.amdhsa_user_sgpr_kernarg_preload_offset 0
		.amdhsa_user_sgpr_private_segment_size 0
		.amdhsa_uses_dynamic_stack 0
		.amdhsa_enable_private_segment 0
		.amdhsa_system_sgpr_workgroup_id_x 1
		.amdhsa_system_sgpr_workgroup_id_y 0
		.amdhsa_system_sgpr_workgroup_id_z 0
		.amdhsa_system_sgpr_workgroup_info 0
		.amdhsa_system_vgpr_workitem_id 0
		.amdhsa_next_free_vgpr 10
		.amdhsa_next_free_sgpr 22
		.amdhsa_accum_offset 12
		.amdhsa_reserve_vcc 1
		.amdhsa_float_round_mode_32 0
		.amdhsa_float_round_mode_16_64 0
		.amdhsa_float_denorm_mode_32 3
		.amdhsa_float_denorm_mode_16_64 3
		.amdhsa_dx10_clamp 1
		.amdhsa_ieee_mode 1
		.amdhsa_fp16_overflow 0
		.amdhsa_tg_split 0
		.amdhsa_exception_fp_ieee_invalid_op 0
		.amdhsa_exception_fp_denorm_src 0
		.amdhsa_exception_fp_ieee_div_zero 0
		.amdhsa_exception_fp_ieee_overflow 0
		.amdhsa_exception_fp_ieee_underflow 0
		.amdhsa_exception_fp_ieee_inexact 0
		.amdhsa_exception_int_div_zero 0
	.end_amdhsa_kernel
	.section	.text._ZN9rocsparseL14csr2coo_kernelILj256ELj2EilEEvT2_PKT1_S4_PS1_21rocsparse_index_base_,"axG",@progbits,_ZN9rocsparseL14csr2coo_kernelILj256ELj2EilEEvT2_PKT1_S4_PS1_21rocsparse_index_base_,comdat
.Lfunc_end16:
	.size	_ZN9rocsparseL14csr2coo_kernelILj256ELj2EilEEvT2_PKT1_S4_PS1_21rocsparse_index_base_, .Lfunc_end16-_ZN9rocsparseL14csr2coo_kernelILj256ELj2EilEEvT2_PKT1_S4_PS1_21rocsparse_index_base_
                                        ; -- End function
	.set _ZN9rocsparseL14csr2coo_kernelILj256ELj2EilEEvT2_PKT1_S4_PS1_21rocsparse_index_base_.num_vgpr, 10
	.set _ZN9rocsparseL14csr2coo_kernelILj256ELj2EilEEvT2_PKT1_S4_PS1_21rocsparse_index_base_.num_agpr, 0
	.set _ZN9rocsparseL14csr2coo_kernelILj256ELj2EilEEvT2_PKT1_S4_PS1_21rocsparse_index_base_.numbered_sgpr, 22
	.set _ZN9rocsparseL14csr2coo_kernelILj256ELj2EilEEvT2_PKT1_S4_PS1_21rocsparse_index_base_.num_named_barrier, 0
	.set _ZN9rocsparseL14csr2coo_kernelILj256ELj2EilEEvT2_PKT1_S4_PS1_21rocsparse_index_base_.private_seg_size, 0
	.set _ZN9rocsparseL14csr2coo_kernelILj256ELj2EilEEvT2_PKT1_S4_PS1_21rocsparse_index_base_.uses_vcc, 1
	.set _ZN9rocsparseL14csr2coo_kernelILj256ELj2EilEEvT2_PKT1_S4_PS1_21rocsparse_index_base_.uses_flat_scratch, 0
	.set _ZN9rocsparseL14csr2coo_kernelILj256ELj2EilEEvT2_PKT1_S4_PS1_21rocsparse_index_base_.has_dyn_sized_stack, 0
	.set _ZN9rocsparseL14csr2coo_kernelILj256ELj2EilEEvT2_PKT1_S4_PS1_21rocsparse_index_base_.has_recursion, 0
	.set _ZN9rocsparseL14csr2coo_kernelILj256ELj2EilEEvT2_PKT1_S4_PS1_21rocsparse_index_base_.has_indirect_call, 0
	.section	.AMDGPU.csdata,"",@progbits
; Kernel info:
; codeLenInByte = 836
; TotalNumSgprs: 28
; NumVgprs: 10
; NumAgprs: 0
; TotalNumVgprs: 10
; ScratchSize: 0
; MemoryBound: 0
; FloatMode: 240
; IeeeMode: 1
; LDSByteSize: 516 bytes/workgroup (compile time only)
; SGPRBlocks: 3
; VGPRBlocks: 1
; NumSGPRsForWavesPerEU: 28
; NumVGPRsForWavesPerEU: 10
; AccumOffset: 12
; Occupancy: 8
; WaveLimiterHint : 0
; COMPUTE_PGM_RSRC2:SCRATCH_EN: 0
; COMPUTE_PGM_RSRC2:USER_SGPR: 2
; COMPUTE_PGM_RSRC2:TRAP_HANDLER: 0
; COMPUTE_PGM_RSRC2:TGID_X_EN: 1
; COMPUTE_PGM_RSRC2:TGID_Y_EN: 0
; COMPUTE_PGM_RSRC2:TGID_Z_EN: 0
; COMPUTE_PGM_RSRC2:TIDIG_COMP_CNT: 0
; COMPUTE_PGM_RSRC3_GFX90A:ACCUM_OFFSET: 2
; COMPUTE_PGM_RSRC3_GFX90A:TG_SPLIT: 0
	.section	.text._ZN9rocsparseL14csr2coo_kernelILj256ELj4EilEEvT2_PKT1_S4_PS1_21rocsparse_index_base_,"axG",@progbits,_ZN9rocsparseL14csr2coo_kernelILj256ELj4EilEEvT2_PKT1_S4_PS1_21rocsparse_index_base_,comdat
	.globl	_ZN9rocsparseL14csr2coo_kernelILj256ELj4EilEEvT2_PKT1_S4_PS1_21rocsparse_index_base_ ; -- Begin function _ZN9rocsparseL14csr2coo_kernelILj256ELj4EilEEvT2_PKT1_S4_PS1_21rocsparse_index_base_
	.p2align	8
	.type	_ZN9rocsparseL14csr2coo_kernelILj256ELj4EilEEvT2_PKT1_S4_PS1_21rocsparse_index_base_,@function
_ZN9rocsparseL14csr2coo_kernelILj256ELj4EilEEvT2_PKT1_S4_PS1_21rocsparse_index_base_: ; @_ZN9rocsparseL14csr2coo_kernelILj256ELj4EilEEvT2_PKT1_S4_PS1_21rocsparse_index_base_
; %bb.0:
	s_load_dwordx8 s[4:11], s[0:1], 0x0
	s_load_dword s12, s[0:1], 0x20
	v_lshrrev_b32_e32 v1, 2, v0
	v_mov_b32_e32 v2, 1
	v_mov_b32_e32 v6, 0
	s_lshl_b32 s18, s2, 6
	ds_write_b32 v6, v2 offset:256
	v_or_b32_e32 v2, s18, v1
	v_mov_b32_e32 v3, v6
	s_waitcnt lgkmcnt(0)
	v_cmp_gt_i64_e32 vcc, s[4:5], v[2:3]
	v_mov_b32_e32 v4, 0
	s_barrier
	s_and_saveexec_b64 s[0:1], vcc
	s_cbranch_execz .LBB17_2
; %bb.1:
	v_lshl_add_u64 v[4:5], v[2:3], 2, s[6:7]
	global_load_dword v4, v[4:5], off
	s_waitcnt vmcnt(0)
	v_subrev_u32_e32 v4, s12, v4
.LBB17_2:
	s_or_b64 exec, exec, s[0:1]
	s_and_saveexec_b64 s[0:1], vcc
	s_cbranch_execz .LBB17_4
; %bb.3:
	v_lshl_add_u64 v[6:7], v[2:3], 2, s[8:9]
	global_load_dword v5, v[6:7], off
	s_waitcnt vmcnt(0)
	v_subrev_u32_e32 v6, s12, v5
.LBB17_4:
	s_or_b64 exec, exec, s[0:1]
	v_sub_u32_e32 v5, v6, v4
	v_cmp_gt_u32_e32 vcc, 33, v5
	v_cmp_lt_u32_e64 s[0:1], 32, v5
	s_and_saveexec_b64 s[2:3], s[0:1]
	s_xor_b64 s[0:1], exec, s[2:3]
; %bb.5:
	v_mov_b32_e32 v2, 0
	ds_write_b32 v2, v2 offset:256
                                        ; implicit-def: $vgpr4
                                        ; implicit-def: $vgpr6
                                        ; implicit-def: $vgpr2_vgpr3
; %bb.6:
	s_andn2_saveexec_b64 s[2:3], s[0:1]
	s_cbranch_execz .LBB17_11
; %bb.7:
	v_and_b32_e32 v5, 3, v0
	v_add_u32_e32 v4, v4, v5
	v_cmp_lt_i32_e64 s[0:1], v4, v6
	s_and_saveexec_b64 s[14:15], s[0:1]
	s_cbranch_execz .LBB17_10
; %bb.8:
	s_mov_b32 s13, 0
	v_lshl_add_u64 v[2:3], v[2:3], 0, s[12:13]
	s_mov_b64 s[16:17], 0
.LBB17_9:                               ; =>This Inner Loop Header: Depth=1
	v_ashrrev_i32_e32 v5, 31, v4
	v_lshl_add_u64 v[8:9], v[4:5], 3, s[10:11]
	v_add_u32_e32 v4, 4, v4
	v_cmp_ge_i32_e64 s[0:1], v4, v6
	s_or_b64 s[16:17], s[0:1], s[16:17]
	global_store_dwordx2 v[8:9], v[2:3], off
	s_andn2_b64 exec, exec, s[16:17]
	s_cbranch_execnz .LBB17_9
.LBB17_10:
	s_or_b64 exec, exec, s[14:15]
.LBB17_11:
	s_or_b64 exec, exec, s[2:3]
	v_cndmask_b32_e64 v2, 0, 1, vcc
	v_lshlrev_b32_e32 v1, 2, v1
	ds_write_b32 v1, v2
	v_mov_b32_e32 v1, 0
	s_waitcnt lgkmcnt(0)
	s_barrier
	ds_read_b32 v1, v1 offset:256
	s_mov_b32 s3, 0
	s_waitcnt lgkmcnt(0)
	v_cmp_ne_u32_e32 vcc, 0, v1
	s_cbranch_vccz .LBB17_13
.LBB17_12:
	s_endpgm
.LBB17_13:
	s_or_b32 s13, s18, 1
	s_mov_b32 s16, 0
	s_branch .LBB17_16
.LBB17_14:                              ;   in Loop: Header=BB17_16 Depth=1
	s_or_b64 exec, exec, s[0:1]
.LBB17_15:                              ;   in Loop: Header=BB17_16 Depth=1
	s_add_i32 s16, s16, 2
	s_cmp_lg_u32 s16, 64
	s_cbranch_scc0 .LBB17_12
.LBB17_16:                              ; =>This Loop Header: Depth=1
                                        ;     Child Loop BB17_23 Depth 2
                                        ;     Child Loop BB17_32 Depth 2
	s_lshl_b32 s17, s16, 2
	v_mov_b32_e32 v1, s17
	ds_read_b32 v1, v1
	s_waitcnt lgkmcnt(0)
	v_cmp_ne_u32_e32 vcc, 0, v1
	s_cbranch_vccnz .LBB17_25
; %bb.17:                               ;   in Loop: Header=BB17_16 Depth=1
	s_or_b32 s2, s16, s18
	v_mov_b64_e32 v[2:3], s[2:3]
	v_cmp_le_i64_e32 vcc, s[4:5], v[2:3]
	v_cmp_gt_i64_e64 s[0:1], s[4:5], v[2:3]
	s_mov_b32 s19, 0
	s_mov_b32 s14, 0
	s_cbranch_vccz .LBB17_20
; %bb.18:                               ;   in Loop: Header=BB17_16 Depth=1
	s_andn2_b64 vcc, exec, s[0:1]
	s_cbranch_vccz .LBB17_21
.LBB17_19:                              ;   in Loop: Header=BB17_16 Depth=1
	v_add_u32_e32 v2, s14, v0
	v_cmp_gt_i32_e32 vcc, s19, v2
	s_and_saveexec_b64 s[0:1], vcc
	s_cbranch_execnz .LBB17_22
	s_branch .LBB17_24
.LBB17_20:                              ;   in Loop: Header=BB17_16 Depth=1
	s_lshl_b64 s[14:15], s[2:3], 2
	s_add_u32 s14, s6, s14
	s_addc_u32 s15, s7, s15
	s_load_dword s14, s[14:15], 0x0
	s_waitcnt lgkmcnt(0)
	s_sub_i32 s14, s14, s12
	s_andn2_b64 vcc, exec, s[0:1]
	s_cbranch_vccnz .LBB17_19
.LBB17_21:                              ;   in Loop: Header=BB17_16 Depth=1
	s_lshl_b64 s[0:1], s[2:3], 2
	s_add_u32 s0, s8, s0
	s_addc_u32 s1, s9, s1
	s_load_dword s0, s[0:1], 0x0
	s_waitcnt lgkmcnt(0)
	s_sub_i32 s19, s0, s12
	v_add_u32_e32 v2, s14, v0
	v_cmp_gt_i32_e32 vcc, s19, v2
	s_and_saveexec_b64 s[0:1], vcc
	s_cbranch_execz .LBB17_24
.LBB17_22:                              ;   in Loop: Header=BB17_16 Depth=1
	s_add_u32 s20, s2, s12
	s_addc_u32 s21, 0, 0
	s_mov_b64 s[14:15], 0
	v_mov_b64_e32 v[4:5], s[20:21]
.LBB17_23:                              ;   Parent Loop BB17_16 Depth=1
                                        ; =>  This Inner Loop Header: Depth=2
	v_ashrrev_i32_e32 v3, 31, v2
	v_lshl_add_u64 v[6:7], v[2:3], 3, s[10:11]
	v_add_u32_e32 v2, 0x100, v2
	v_cmp_le_i32_e32 vcc, s19, v2
	s_or_b64 s[14:15], vcc, s[14:15]
	global_store_dwordx2 v[6:7], v[4:5], off
	s_andn2_b64 exec, exec, s[14:15]
	s_cbranch_execnz .LBB17_23
.LBB17_24:                              ;   in Loop: Header=BB17_16 Depth=1
	s_or_b64 exec, exec, s[0:1]
.LBB17_25:                              ;   in Loop: Header=BB17_16 Depth=1
	v_mov_b32_e32 v1, s17
	ds_read_b32 v1, v1 offset:4
	s_waitcnt lgkmcnt(0)
	v_cmp_ne_u32_e32 vcc, 0, v1
	s_cbranch_vccnz .LBB17_15
; %bb.26:                               ;   in Loop: Header=BB17_16 Depth=1
	s_or_b32 s2, s16, s13
	v_mov_b64_e32 v[2:3], s[2:3]
	v_cmp_le_i64_e32 vcc, s[4:5], v[2:3]
	v_cmp_gt_i64_e64 s[0:1], s[4:5], v[2:3]
	s_mov_b32 s17, 0
	s_mov_b32 s14, 0
	s_cbranch_vccz .LBB17_29
; %bb.27:                               ;   in Loop: Header=BB17_16 Depth=1
	s_andn2_b64 vcc, exec, s[0:1]
	s_cbranch_vccz .LBB17_30
.LBB17_28:                              ;   in Loop: Header=BB17_16 Depth=1
	v_add_u32_e32 v2, s14, v0
	v_cmp_gt_i32_e32 vcc, s17, v2
	s_and_saveexec_b64 s[0:1], vcc
	s_cbranch_execz .LBB17_14
	s_branch .LBB17_31
.LBB17_29:                              ;   in Loop: Header=BB17_16 Depth=1
	s_add_u32 s14, s16, s18
	s_addc_u32 s15, 0, 0
	s_lshl_b64 s[14:15], s[14:15], 2
	s_add_u32 s14, s6, s14
	s_addc_u32 s15, s7, s15
	s_load_dword s14, s[14:15], 0x4
	s_waitcnt lgkmcnt(0)
	s_sub_i32 s14, s14, s12
	s_andn2_b64 vcc, exec, s[0:1]
	s_cbranch_vccnz .LBB17_28
.LBB17_30:                              ;   in Loop: Header=BB17_16 Depth=1
	s_add_u32 s0, s16, s18
	s_addc_u32 s1, 0, 0
	s_lshl_b64 s[0:1], s[0:1], 2
	s_add_u32 s0, s8, s0
	s_addc_u32 s1, s9, s1
	s_load_dword s0, s[0:1], 0x4
	s_waitcnt lgkmcnt(0)
	s_sub_i32 s17, s0, s12
	v_add_u32_e32 v2, s14, v0
	v_cmp_gt_i32_e32 vcc, s17, v2
	s_and_saveexec_b64 s[0:1], vcc
	s_cbranch_execz .LBB17_14
.LBB17_31:                              ;   in Loop: Header=BB17_16 Depth=1
	s_add_u32 s20, s2, s12
	s_addc_u32 s21, 0, 0
	s_mov_b64 s[14:15], 0
	v_mov_b64_e32 v[4:5], s[20:21]
.LBB17_32:                              ;   Parent Loop BB17_16 Depth=1
                                        ; =>  This Inner Loop Header: Depth=2
	v_ashrrev_i32_e32 v3, 31, v2
	v_lshl_add_u64 v[6:7], v[2:3], 3, s[10:11]
	v_add_u32_e32 v2, 0x100, v2
	v_cmp_le_i32_e32 vcc, s17, v2
	s_or_b64 s[14:15], vcc, s[14:15]
	global_store_dwordx2 v[6:7], v[4:5], off
	s_andn2_b64 exec, exec, s[14:15]
	s_cbranch_execnz .LBB17_32
	s_branch .LBB17_14
	.section	.rodata,"a",@progbits
	.p2align	6, 0x0
	.amdhsa_kernel _ZN9rocsparseL14csr2coo_kernelILj256ELj4EilEEvT2_PKT1_S4_PS1_21rocsparse_index_base_
		.amdhsa_group_segment_fixed_size 260
		.amdhsa_private_segment_fixed_size 0
		.amdhsa_kernarg_size 36
		.amdhsa_user_sgpr_count 2
		.amdhsa_user_sgpr_dispatch_ptr 0
		.amdhsa_user_sgpr_queue_ptr 0
		.amdhsa_user_sgpr_kernarg_segment_ptr 1
		.amdhsa_user_sgpr_dispatch_id 0
		.amdhsa_user_sgpr_kernarg_preload_length 0
		.amdhsa_user_sgpr_kernarg_preload_offset 0
		.amdhsa_user_sgpr_private_segment_size 0
		.amdhsa_uses_dynamic_stack 0
		.amdhsa_enable_private_segment 0
		.amdhsa_system_sgpr_workgroup_id_x 1
		.amdhsa_system_sgpr_workgroup_id_y 0
		.amdhsa_system_sgpr_workgroup_id_z 0
		.amdhsa_system_sgpr_workgroup_info 0
		.amdhsa_system_vgpr_workitem_id 0
		.amdhsa_next_free_vgpr 10
		.amdhsa_next_free_sgpr 22
		.amdhsa_accum_offset 12
		.amdhsa_reserve_vcc 1
		.amdhsa_float_round_mode_32 0
		.amdhsa_float_round_mode_16_64 0
		.amdhsa_float_denorm_mode_32 3
		.amdhsa_float_denorm_mode_16_64 3
		.amdhsa_dx10_clamp 1
		.amdhsa_ieee_mode 1
		.amdhsa_fp16_overflow 0
		.amdhsa_tg_split 0
		.amdhsa_exception_fp_ieee_invalid_op 0
		.amdhsa_exception_fp_denorm_src 0
		.amdhsa_exception_fp_ieee_div_zero 0
		.amdhsa_exception_fp_ieee_overflow 0
		.amdhsa_exception_fp_ieee_underflow 0
		.amdhsa_exception_fp_ieee_inexact 0
		.amdhsa_exception_int_div_zero 0
	.end_amdhsa_kernel
	.section	.text._ZN9rocsparseL14csr2coo_kernelILj256ELj4EilEEvT2_PKT1_S4_PS1_21rocsparse_index_base_,"axG",@progbits,_ZN9rocsparseL14csr2coo_kernelILj256ELj4EilEEvT2_PKT1_S4_PS1_21rocsparse_index_base_,comdat
.Lfunc_end17:
	.size	_ZN9rocsparseL14csr2coo_kernelILj256ELj4EilEEvT2_PKT1_S4_PS1_21rocsparse_index_base_, .Lfunc_end17-_ZN9rocsparseL14csr2coo_kernelILj256ELj4EilEEvT2_PKT1_S4_PS1_21rocsparse_index_base_
                                        ; -- End function
	.set _ZN9rocsparseL14csr2coo_kernelILj256ELj4EilEEvT2_PKT1_S4_PS1_21rocsparse_index_base_.num_vgpr, 10
	.set _ZN9rocsparseL14csr2coo_kernelILj256ELj4EilEEvT2_PKT1_S4_PS1_21rocsparse_index_base_.num_agpr, 0
	.set _ZN9rocsparseL14csr2coo_kernelILj256ELj4EilEEvT2_PKT1_S4_PS1_21rocsparse_index_base_.numbered_sgpr, 22
	.set _ZN9rocsparseL14csr2coo_kernelILj256ELj4EilEEvT2_PKT1_S4_PS1_21rocsparse_index_base_.num_named_barrier, 0
	.set _ZN9rocsparseL14csr2coo_kernelILj256ELj4EilEEvT2_PKT1_S4_PS1_21rocsparse_index_base_.private_seg_size, 0
	.set _ZN9rocsparseL14csr2coo_kernelILj256ELj4EilEEvT2_PKT1_S4_PS1_21rocsparse_index_base_.uses_vcc, 1
	.set _ZN9rocsparseL14csr2coo_kernelILj256ELj4EilEEvT2_PKT1_S4_PS1_21rocsparse_index_base_.uses_flat_scratch, 0
	.set _ZN9rocsparseL14csr2coo_kernelILj256ELj4EilEEvT2_PKT1_S4_PS1_21rocsparse_index_base_.has_dyn_sized_stack, 0
	.set _ZN9rocsparseL14csr2coo_kernelILj256ELj4EilEEvT2_PKT1_S4_PS1_21rocsparse_index_base_.has_recursion, 0
	.set _ZN9rocsparseL14csr2coo_kernelILj256ELj4EilEEvT2_PKT1_S4_PS1_21rocsparse_index_base_.has_indirect_call, 0
	.section	.AMDGPU.csdata,"",@progbits
; Kernel info:
; codeLenInByte = 836
; TotalNumSgprs: 28
; NumVgprs: 10
; NumAgprs: 0
; TotalNumVgprs: 10
; ScratchSize: 0
; MemoryBound: 0
; FloatMode: 240
; IeeeMode: 1
; LDSByteSize: 260 bytes/workgroup (compile time only)
; SGPRBlocks: 3
; VGPRBlocks: 1
; NumSGPRsForWavesPerEU: 28
; NumVGPRsForWavesPerEU: 10
; AccumOffset: 12
; Occupancy: 8
; WaveLimiterHint : 0
; COMPUTE_PGM_RSRC2:SCRATCH_EN: 0
; COMPUTE_PGM_RSRC2:USER_SGPR: 2
; COMPUTE_PGM_RSRC2:TRAP_HANDLER: 0
; COMPUTE_PGM_RSRC2:TGID_X_EN: 1
; COMPUTE_PGM_RSRC2:TGID_Y_EN: 0
; COMPUTE_PGM_RSRC2:TGID_Z_EN: 0
; COMPUTE_PGM_RSRC2:TIDIG_COMP_CNT: 0
; COMPUTE_PGM_RSRC3_GFX90A:ACCUM_OFFSET: 2
; COMPUTE_PGM_RSRC3_GFX90A:TG_SPLIT: 0
	.section	.text._ZN9rocsparseL14csr2coo_kernelILj256ELj8EilEEvT2_PKT1_S4_PS1_21rocsparse_index_base_,"axG",@progbits,_ZN9rocsparseL14csr2coo_kernelILj256ELj8EilEEvT2_PKT1_S4_PS1_21rocsparse_index_base_,comdat
	.globl	_ZN9rocsparseL14csr2coo_kernelILj256ELj8EilEEvT2_PKT1_S4_PS1_21rocsparse_index_base_ ; -- Begin function _ZN9rocsparseL14csr2coo_kernelILj256ELj8EilEEvT2_PKT1_S4_PS1_21rocsparse_index_base_
	.p2align	8
	.type	_ZN9rocsparseL14csr2coo_kernelILj256ELj8EilEEvT2_PKT1_S4_PS1_21rocsparse_index_base_,@function
_ZN9rocsparseL14csr2coo_kernelILj256ELj8EilEEvT2_PKT1_S4_PS1_21rocsparse_index_base_: ; @_ZN9rocsparseL14csr2coo_kernelILj256ELj8EilEEvT2_PKT1_S4_PS1_21rocsparse_index_base_
; %bb.0:
	s_load_dwordx8 s[4:11], s[0:1], 0x0
	s_load_dword s12, s[0:1], 0x20
	v_lshrrev_b32_e32 v1, 3, v0
	v_mov_b32_e32 v2, 1
	v_mov_b32_e32 v6, 0
	s_lshl_b32 s18, s2, 5
	ds_write_b32 v6, v2 offset:128
	v_or_b32_e32 v2, s18, v1
	v_mov_b32_e32 v3, v6
	s_waitcnt lgkmcnt(0)
	v_cmp_gt_i64_e32 vcc, s[4:5], v[2:3]
	v_mov_b32_e32 v4, 0
	s_barrier
	s_and_saveexec_b64 s[0:1], vcc
	s_cbranch_execz .LBB18_2
; %bb.1:
	v_lshl_add_u64 v[4:5], v[2:3], 2, s[6:7]
	global_load_dword v4, v[4:5], off
	s_waitcnt vmcnt(0)
	v_subrev_u32_e32 v4, s12, v4
.LBB18_2:
	s_or_b64 exec, exec, s[0:1]
	s_and_saveexec_b64 s[0:1], vcc
	s_cbranch_execz .LBB18_4
; %bb.3:
	v_lshl_add_u64 v[6:7], v[2:3], 2, s[8:9]
	global_load_dword v5, v[6:7], off
	s_waitcnt vmcnt(0)
	v_subrev_u32_e32 v6, s12, v5
.LBB18_4:
	s_or_b64 exec, exec, s[0:1]
	v_sub_u32_e32 v5, v6, v4
	s_movk_i32 s0, 0x41
	v_cmp_gt_u32_e32 vcc, s0, v5
	v_cmp_lt_u32_e64 s[0:1], 64, v5
	s_and_saveexec_b64 s[2:3], s[0:1]
	s_xor_b64 s[0:1], exec, s[2:3]
; %bb.5:
	v_mov_b32_e32 v2, 0
	ds_write_b32 v2, v2 offset:128
                                        ; implicit-def: $vgpr4
                                        ; implicit-def: $vgpr6
                                        ; implicit-def: $vgpr2_vgpr3
; %bb.6:
	s_andn2_saveexec_b64 s[2:3], s[0:1]
	s_cbranch_execz .LBB18_11
; %bb.7:
	v_and_b32_e32 v5, 7, v0
	v_add_u32_e32 v4, v4, v5
	v_cmp_lt_i32_e64 s[0:1], v4, v6
	s_and_saveexec_b64 s[14:15], s[0:1]
	s_cbranch_execz .LBB18_10
; %bb.8:
	s_mov_b32 s13, 0
	v_lshl_add_u64 v[2:3], v[2:3], 0, s[12:13]
	s_mov_b64 s[16:17], 0
.LBB18_9:                               ; =>This Inner Loop Header: Depth=1
	v_ashrrev_i32_e32 v5, 31, v4
	v_lshl_add_u64 v[8:9], v[4:5], 3, s[10:11]
	v_add_u32_e32 v4, 8, v4
	v_cmp_ge_i32_e64 s[0:1], v4, v6
	s_or_b64 s[16:17], s[0:1], s[16:17]
	global_store_dwordx2 v[8:9], v[2:3], off
	s_andn2_b64 exec, exec, s[16:17]
	s_cbranch_execnz .LBB18_9
.LBB18_10:
	s_or_b64 exec, exec, s[14:15]
.LBB18_11:
	s_or_b64 exec, exec, s[2:3]
	v_cndmask_b32_e64 v2, 0, 1, vcc
	v_lshlrev_b32_e32 v1, 2, v1
	ds_write_b32 v1, v2
	v_mov_b32_e32 v1, 0
	s_waitcnt lgkmcnt(0)
	s_barrier
	ds_read_b32 v1, v1 offset:128
	s_mov_b32 s3, 0
	s_waitcnt lgkmcnt(0)
	v_cmp_ne_u32_e32 vcc, 0, v1
	s_cbranch_vccz .LBB18_13
.LBB18_12:
	s_endpgm
.LBB18_13:
	s_or_b32 s13, s18, 1
	s_mov_b32 s16, 0
	s_branch .LBB18_16
.LBB18_14:                              ;   in Loop: Header=BB18_16 Depth=1
	s_or_b64 exec, exec, s[0:1]
.LBB18_15:                              ;   in Loop: Header=BB18_16 Depth=1
	s_add_i32 s16, s16, 2
	s_cmp_lg_u32 s16, 32
	s_cbranch_scc0 .LBB18_12
.LBB18_16:                              ; =>This Loop Header: Depth=1
                                        ;     Child Loop BB18_23 Depth 2
                                        ;     Child Loop BB18_32 Depth 2
	s_lshl_b32 s17, s16, 2
	v_mov_b32_e32 v1, s17
	ds_read_b32 v1, v1
	s_waitcnt lgkmcnt(0)
	v_cmp_ne_u32_e32 vcc, 0, v1
	s_cbranch_vccnz .LBB18_25
; %bb.17:                               ;   in Loop: Header=BB18_16 Depth=1
	s_or_b32 s2, s16, s18
	v_mov_b64_e32 v[2:3], s[2:3]
	v_cmp_le_i64_e32 vcc, s[4:5], v[2:3]
	v_cmp_gt_i64_e64 s[0:1], s[4:5], v[2:3]
	s_mov_b32 s19, 0
	s_mov_b32 s14, 0
	s_cbranch_vccz .LBB18_20
; %bb.18:                               ;   in Loop: Header=BB18_16 Depth=1
	s_andn2_b64 vcc, exec, s[0:1]
	s_cbranch_vccz .LBB18_21
.LBB18_19:                              ;   in Loop: Header=BB18_16 Depth=1
	v_add_u32_e32 v2, s14, v0
	v_cmp_gt_i32_e32 vcc, s19, v2
	s_and_saveexec_b64 s[0:1], vcc
	s_cbranch_execnz .LBB18_22
	s_branch .LBB18_24
.LBB18_20:                              ;   in Loop: Header=BB18_16 Depth=1
	s_lshl_b64 s[14:15], s[2:3], 2
	s_add_u32 s14, s6, s14
	s_addc_u32 s15, s7, s15
	s_load_dword s14, s[14:15], 0x0
	s_waitcnt lgkmcnt(0)
	s_sub_i32 s14, s14, s12
	s_andn2_b64 vcc, exec, s[0:1]
	s_cbranch_vccnz .LBB18_19
.LBB18_21:                              ;   in Loop: Header=BB18_16 Depth=1
	s_lshl_b64 s[0:1], s[2:3], 2
	s_add_u32 s0, s8, s0
	s_addc_u32 s1, s9, s1
	s_load_dword s0, s[0:1], 0x0
	s_waitcnt lgkmcnt(0)
	s_sub_i32 s19, s0, s12
	v_add_u32_e32 v2, s14, v0
	v_cmp_gt_i32_e32 vcc, s19, v2
	s_and_saveexec_b64 s[0:1], vcc
	s_cbranch_execz .LBB18_24
.LBB18_22:                              ;   in Loop: Header=BB18_16 Depth=1
	s_add_u32 s20, s2, s12
	s_addc_u32 s21, 0, 0
	s_mov_b64 s[14:15], 0
	v_mov_b64_e32 v[4:5], s[20:21]
.LBB18_23:                              ;   Parent Loop BB18_16 Depth=1
                                        ; =>  This Inner Loop Header: Depth=2
	v_ashrrev_i32_e32 v3, 31, v2
	v_lshl_add_u64 v[6:7], v[2:3], 3, s[10:11]
	v_add_u32_e32 v2, 0x100, v2
	v_cmp_le_i32_e32 vcc, s19, v2
	s_or_b64 s[14:15], vcc, s[14:15]
	global_store_dwordx2 v[6:7], v[4:5], off
	s_andn2_b64 exec, exec, s[14:15]
	s_cbranch_execnz .LBB18_23
.LBB18_24:                              ;   in Loop: Header=BB18_16 Depth=1
	s_or_b64 exec, exec, s[0:1]
.LBB18_25:                              ;   in Loop: Header=BB18_16 Depth=1
	v_mov_b32_e32 v1, s17
	ds_read_b32 v1, v1 offset:4
	s_waitcnt lgkmcnt(0)
	v_cmp_ne_u32_e32 vcc, 0, v1
	s_cbranch_vccnz .LBB18_15
; %bb.26:                               ;   in Loop: Header=BB18_16 Depth=1
	s_or_b32 s2, s16, s13
	v_mov_b64_e32 v[2:3], s[2:3]
	v_cmp_le_i64_e32 vcc, s[4:5], v[2:3]
	v_cmp_gt_i64_e64 s[0:1], s[4:5], v[2:3]
	s_mov_b32 s17, 0
	s_mov_b32 s14, 0
	s_cbranch_vccz .LBB18_29
; %bb.27:                               ;   in Loop: Header=BB18_16 Depth=1
	s_andn2_b64 vcc, exec, s[0:1]
	s_cbranch_vccz .LBB18_30
.LBB18_28:                              ;   in Loop: Header=BB18_16 Depth=1
	v_add_u32_e32 v2, s14, v0
	v_cmp_gt_i32_e32 vcc, s17, v2
	s_and_saveexec_b64 s[0:1], vcc
	s_cbranch_execz .LBB18_14
	s_branch .LBB18_31
.LBB18_29:                              ;   in Loop: Header=BB18_16 Depth=1
	s_add_u32 s14, s16, s18
	s_addc_u32 s15, 0, 0
	s_lshl_b64 s[14:15], s[14:15], 2
	s_add_u32 s14, s6, s14
	s_addc_u32 s15, s7, s15
	s_load_dword s14, s[14:15], 0x4
	s_waitcnt lgkmcnt(0)
	s_sub_i32 s14, s14, s12
	s_andn2_b64 vcc, exec, s[0:1]
	s_cbranch_vccnz .LBB18_28
.LBB18_30:                              ;   in Loop: Header=BB18_16 Depth=1
	s_add_u32 s0, s16, s18
	s_addc_u32 s1, 0, 0
	s_lshl_b64 s[0:1], s[0:1], 2
	s_add_u32 s0, s8, s0
	s_addc_u32 s1, s9, s1
	s_load_dword s0, s[0:1], 0x4
	s_waitcnt lgkmcnt(0)
	s_sub_i32 s17, s0, s12
	v_add_u32_e32 v2, s14, v0
	v_cmp_gt_i32_e32 vcc, s17, v2
	s_and_saveexec_b64 s[0:1], vcc
	s_cbranch_execz .LBB18_14
.LBB18_31:                              ;   in Loop: Header=BB18_16 Depth=1
	s_add_u32 s20, s2, s12
	s_addc_u32 s21, 0, 0
	s_mov_b64 s[14:15], 0
	v_mov_b64_e32 v[4:5], s[20:21]
.LBB18_32:                              ;   Parent Loop BB18_16 Depth=1
                                        ; =>  This Inner Loop Header: Depth=2
	v_ashrrev_i32_e32 v3, 31, v2
	v_lshl_add_u64 v[6:7], v[2:3], 3, s[10:11]
	v_add_u32_e32 v2, 0x100, v2
	v_cmp_le_i32_e32 vcc, s17, v2
	s_or_b64 s[14:15], vcc, s[14:15]
	global_store_dwordx2 v[6:7], v[4:5], off
	s_andn2_b64 exec, exec, s[14:15]
	s_cbranch_execnz .LBB18_32
	s_branch .LBB18_14
	.section	.rodata,"a",@progbits
	.p2align	6, 0x0
	.amdhsa_kernel _ZN9rocsparseL14csr2coo_kernelILj256ELj8EilEEvT2_PKT1_S4_PS1_21rocsparse_index_base_
		.amdhsa_group_segment_fixed_size 132
		.amdhsa_private_segment_fixed_size 0
		.amdhsa_kernarg_size 36
		.amdhsa_user_sgpr_count 2
		.amdhsa_user_sgpr_dispatch_ptr 0
		.amdhsa_user_sgpr_queue_ptr 0
		.amdhsa_user_sgpr_kernarg_segment_ptr 1
		.amdhsa_user_sgpr_dispatch_id 0
		.amdhsa_user_sgpr_kernarg_preload_length 0
		.amdhsa_user_sgpr_kernarg_preload_offset 0
		.amdhsa_user_sgpr_private_segment_size 0
		.amdhsa_uses_dynamic_stack 0
		.amdhsa_enable_private_segment 0
		.amdhsa_system_sgpr_workgroup_id_x 1
		.amdhsa_system_sgpr_workgroup_id_y 0
		.amdhsa_system_sgpr_workgroup_id_z 0
		.amdhsa_system_sgpr_workgroup_info 0
		.amdhsa_system_vgpr_workitem_id 0
		.amdhsa_next_free_vgpr 10
		.amdhsa_next_free_sgpr 22
		.amdhsa_accum_offset 12
		.amdhsa_reserve_vcc 1
		.amdhsa_float_round_mode_32 0
		.amdhsa_float_round_mode_16_64 0
		.amdhsa_float_denorm_mode_32 3
		.amdhsa_float_denorm_mode_16_64 3
		.amdhsa_dx10_clamp 1
		.amdhsa_ieee_mode 1
		.amdhsa_fp16_overflow 0
		.amdhsa_tg_split 0
		.amdhsa_exception_fp_ieee_invalid_op 0
		.amdhsa_exception_fp_denorm_src 0
		.amdhsa_exception_fp_ieee_div_zero 0
		.amdhsa_exception_fp_ieee_overflow 0
		.amdhsa_exception_fp_ieee_underflow 0
		.amdhsa_exception_fp_ieee_inexact 0
		.amdhsa_exception_int_div_zero 0
	.end_amdhsa_kernel
	.section	.text._ZN9rocsparseL14csr2coo_kernelILj256ELj8EilEEvT2_PKT1_S4_PS1_21rocsparse_index_base_,"axG",@progbits,_ZN9rocsparseL14csr2coo_kernelILj256ELj8EilEEvT2_PKT1_S4_PS1_21rocsparse_index_base_,comdat
.Lfunc_end18:
	.size	_ZN9rocsparseL14csr2coo_kernelILj256ELj8EilEEvT2_PKT1_S4_PS1_21rocsparse_index_base_, .Lfunc_end18-_ZN9rocsparseL14csr2coo_kernelILj256ELj8EilEEvT2_PKT1_S4_PS1_21rocsparse_index_base_
                                        ; -- End function
	.set _ZN9rocsparseL14csr2coo_kernelILj256ELj8EilEEvT2_PKT1_S4_PS1_21rocsparse_index_base_.num_vgpr, 10
	.set _ZN9rocsparseL14csr2coo_kernelILj256ELj8EilEEvT2_PKT1_S4_PS1_21rocsparse_index_base_.num_agpr, 0
	.set _ZN9rocsparseL14csr2coo_kernelILj256ELj8EilEEvT2_PKT1_S4_PS1_21rocsparse_index_base_.numbered_sgpr, 22
	.set _ZN9rocsparseL14csr2coo_kernelILj256ELj8EilEEvT2_PKT1_S4_PS1_21rocsparse_index_base_.num_named_barrier, 0
	.set _ZN9rocsparseL14csr2coo_kernelILj256ELj8EilEEvT2_PKT1_S4_PS1_21rocsparse_index_base_.private_seg_size, 0
	.set _ZN9rocsparseL14csr2coo_kernelILj256ELj8EilEEvT2_PKT1_S4_PS1_21rocsparse_index_base_.uses_vcc, 1
	.set _ZN9rocsparseL14csr2coo_kernelILj256ELj8EilEEvT2_PKT1_S4_PS1_21rocsparse_index_base_.uses_flat_scratch, 0
	.set _ZN9rocsparseL14csr2coo_kernelILj256ELj8EilEEvT2_PKT1_S4_PS1_21rocsparse_index_base_.has_dyn_sized_stack, 0
	.set _ZN9rocsparseL14csr2coo_kernelILj256ELj8EilEEvT2_PKT1_S4_PS1_21rocsparse_index_base_.has_recursion, 0
	.set _ZN9rocsparseL14csr2coo_kernelILj256ELj8EilEEvT2_PKT1_S4_PS1_21rocsparse_index_base_.has_indirect_call, 0
	.section	.AMDGPU.csdata,"",@progbits
; Kernel info:
; codeLenInByte = 840
; TotalNumSgprs: 28
; NumVgprs: 10
; NumAgprs: 0
; TotalNumVgprs: 10
; ScratchSize: 0
; MemoryBound: 0
; FloatMode: 240
; IeeeMode: 1
; LDSByteSize: 132 bytes/workgroup (compile time only)
; SGPRBlocks: 3
; VGPRBlocks: 1
; NumSGPRsForWavesPerEU: 28
; NumVGPRsForWavesPerEU: 10
; AccumOffset: 12
; Occupancy: 8
; WaveLimiterHint : 0
; COMPUTE_PGM_RSRC2:SCRATCH_EN: 0
; COMPUTE_PGM_RSRC2:USER_SGPR: 2
; COMPUTE_PGM_RSRC2:TRAP_HANDLER: 0
; COMPUTE_PGM_RSRC2:TGID_X_EN: 1
; COMPUTE_PGM_RSRC2:TGID_Y_EN: 0
; COMPUTE_PGM_RSRC2:TGID_Z_EN: 0
; COMPUTE_PGM_RSRC2:TIDIG_COMP_CNT: 0
; COMPUTE_PGM_RSRC3_GFX90A:ACCUM_OFFSET: 2
; COMPUTE_PGM_RSRC3_GFX90A:TG_SPLIT: 0
	.section	.text._ZN9rocsparseL14csr2coo_kernelILj256ELj16EilEEvT2_PKT1_S4_PS1_21rocsparse_index_base_,"axG",@progbits,_ZN9rocsparseL14csr2coo_kernelILj256ELj16EilEEvT2_PKT1_S4_PS1_21rocsparse_index_base_,comdat
	.globl	_ZN9rocsparseL14csr2coo_kernelILj256ELj16EilEEvT2_PKT1_S4_PS1_21rocsparse_index_base_ ; -- Begin function _ZN9rocsparseL14csr2coo_kernelILj256ELj16EilEEvT2_PKT1_S4_PS1_21rocsparse_index_base_
	.p2align	8
	.type	_ZN9rocsparseL14csr2coo_kernelILj256ELj16EilEEvT2_PKT1_S4_PS1_21rocsparse_index_base_,@function
_ZN9rocsparseL14csr2coo_kernelILj256ELj16EilEEvT2_PKT1_S4_PS1_21rocsparse_index_base_: ; @_ZN9rocsparseL14csr2coo_kernelILj256ELj16EilEEvT2_PKT1_S4_PS1_21rocsparse_index_base_
; %bb.0:
	s_load_dwordx8 s[4:11], s[0:1], 0x0
	s_load_dword s12, s[0:1], 0x20
	v_lshrrev_b32_e32 v1, 4, v0
	v_mov_b32_e32 v2, 1
	v_mov_b32_e32 v6, 0
	s_lshl_b32 s2, s2, 4
	ds_write_b32 v6, v2 offset:64
	v_or_b32_e32 v2, s2, v1
	v_mov_b32_e32 v3, v6
	s_waitcnt lgkmcnt(0)
	v_cmp_gt_i64_e32 vcc, s[4:5], v[2:3]
	v_mov_b32_e32 v4, 0
	s_barrier
	s_and_saveexec_b64 s[0:1], vcc
	s_cbranch_execz .LBB19_2
; %bb.1:
	v_lshl_add_u64 v[4:5], v[2:3], 2, s[6:7]
	global_load_dword v4, v[4:5], off
	s_waitcnt vmcnt(0)
	v_subrev_u32_e32 v4, s12, v4
.LBB19_2:
	s_or_b64 exec, exec, s[0:1]
	s_and_saveexec_b64 s[0:1], vcc
	s_cbranch_execz .LBB19_4
; %bb.3:
	v_lshl_add_u64 v[6:7], v[2:3], 2, s[8:9]
	global_load_dword v5, v[6:7], off
	s_waitcnt vmcnt(0)
	v_subrev_u32_e32 v6, s12, v5
.LBB19_4:
	s_or_b64 exec, exec, s[0:1]
	v_sub_u32_e32 v5, v6, v4
	s_movk_i32 s0, 0x81
	v_cmp_gt_u32_e32 vcc, s0, v5
	s_movk_i32 s0, 0x80
	v_cmp_lt_u32_e64 s[0:1], s0, v5
	s_and_saveexec_b64 s[14:15], s[0:1]
	s_xor_b64 s[0:1], exec, s[14:15]
; %bb.5:
	v_mov_b32_e32 v2, 0
	ds_write_b32 v2, v2 offset:64
                                        ; implicit-def: $vgpr4
                                        ; implicit-def: $vgpr6
                                        ; implicit-def: $vgpr2_vgpr3
; %bb.6:
	s_andn2_saveexec_b64 s[14:15], s[0:1]
	s_cbranch_execz .LBB19_11
; %bb.7:
	v_and_b32_e32 v5, 15, v0
	v_add_u32_e32 v4, v4, v5
	v_cmp_lt_i32_e64 s[0:1], v4, v6
	s_and_saveexec_b64 s[16:17], s[0:1]
	s_cbranch_execz .LBB19_10
; %bb.8:
	s_mov_b32 s13, 0
	v_lshl_add_u64 v[2:3], v[2:3], 0, s[12:13]
	s_mov_b64 s[18:19], 0
.LBB19_9:                               ; =>This Inner Loop Header: Depth=1
	v_ashrrev_i32_e32 v5, 31, v4
	v_lshl_add_u64 v[8:9], v[4:5], 3, s[10:11]
	v_add_u32_e32 v4, 16, v4
	v_cmp_ge_i32_e64 s[0:1], v4, v6
	s_or_b64 s[18:19], s[0:1], s[18:19]
	global_store_dwordx2 v[8:9], v[2:3], off
	s_andn2_b64 exec, exec, s[18:19]
	s_cbranch_execnz .LBB19_9
.LBB19_10:
	s_or_b64 exec, exec, s[16:17]
.LBB19_11:
	s_or_b64 exec, exec, s[14:15]
	v_cndmask_b32_e64 v2, 0, 1, vcc
	v_lshlrev_b32_e32 v1, 2, v1
	ds_write_b32 v1, v2
	v_mov_b32_e32 v1, 0
	s_waitcnt lgkmcnt(0)
	s_barrier
	ds_read_b32 v2, v1 offset:64
	s_waitcnt lgkmcnt(0)
	v_cmp_ne_u32_e32 vcc, 0, v2
	s_cbranch_vccnz .LBB19_155
; %bb.12:
	ds_read_b32 v1, v1
	s_mov_b32 s3, 0
	s_waitcnt lgkmcnt(0)
	v_cmp_ne_u32_e32 vcc, 0, v1
	s_cbranch_vccnz .LBB19_21
; %bb.13:
	v_mov_b64_e32 v[2:3], s[2:3]
	v_cmp_le_i64_e32 vcc, s[4:5], v[2:3]
	v_cmp_gt_i64_e64 s[0:1], s[4:5], v[2:3]
	s_mov_b32 s13, 0
	s_mov_b32 s14, 0
	s_cbranch_vccz .LBB19_16
; %bb.14:
	s_andn2_b64 vcc, exec, s[0:1]
	s_cbranch_vccz .LBB19_17
.LBB19_15:
	v_add_u32_e32 v2, s14, v0
	v_cmp_gt_i32_e32 vcc, s13, v2
	s_and_saveexec_b64 s[0:1], vcc
	s_cbranch_execnz .LBB19_18
	s_branch .LBB19_20
.LBB19_16:
	s_lshl_b64 s[14:15], s[2:3], 2
	s_add_u32 s14, s6, s14
	s_addc_u32 s15, s7, s15
	s_load_dword s14, s[14:15], 0x0
	s_waitcnt lgkmcnt(0)
	s_sub_i32 s14, s14, s12
	s_andn2_b64 vcc, exec, s[0:1]
	s_cbranch_vccnz .LBB19_15
.LBB19_17:
	s_lshl_b64 s[0:1], s[2:3], 2
	s_add_u32 s0, s8, s0
	s_addc_u32 s1, s9, s1
	s_load_dword s0, s[0:1], 0x0
	s_waitcnt lgkmcnt(0)
	s_sub_i32 s13, s0, s12
	v_add_u32_e32 v2, s14, v0
	v_cmp_gt_i32_e32 vcc, s13, v2
	s_and_saveexec_b64 s[0:1], vcc
	s_cbranch_execz .LBB19_20
.LBB19_18:
	s_add_u32 s16, s2, s12
	s_addc_u32 s17, 0, 0
	s_mov_b64 s[14:15], 0
	v_mov_b64_e32 v[4:5], s[16:17]
.LBB19_19:                              ; =>This Inner Loop Header: Depth=1
	v_ashrrev_i32_e32 v3, 31, v2
	v_lshl_add_u64 v[6:7], v[2:3], 3, s[10:11]
	v_add_u32_e32 v2, 0x100, v2
	v_cmp_le_i32_e32 vcc, s13, v2
	s_or_b64 s[14:15], vcc, s[14:15]
	global_store_dwordx2 v[6:7], v[4:5], off
	s_andn2_b64 exec, exec, s[14:15]
	s_cbranch_execnz .LBB19_19
.LBB19_20:
	s_or_b64 exec, exec, s[0:1]
.LBB19_21:
	v_mov_b32_e32 v1, 0
	ds_read_b32 v2, v1 offset:4
	s_waitcnt lgkmcnt(0)
	v_cmp_ne_u32_e32 vcc, 0, v2
	s_cbranch_vccz .LBB19_23
; %bb.22:
	ds_read_b32 v1, v1 offset:8
	s_waitcnt lgkmcnt(0)
	v_cmp_ne_u32_e32 vcc, 0, v1
	s_cbranch_vccnz .LBB19_39
	s_branch .LBB19_31
.LBB19_23:
	s_or_b32 s14, s2, 1
	s_mov_b32 s15, s3
	v_mov_b64_e32 v[2:3], s[14:15]
	v_cmp_le_i64_e32 vcc, s[4:5], v[2:3]
	v_cmp_gt_i64_e64 s[0:1], s[4:5], v[2:3]
	s_cbranch_vccz .LBB19_26
; %bb.24:
	s_andn2_b64 vcc, exec, s[0:1]
	s_mov_b32 s13, 0
	s_cbranch_vccz .LBB19_27
.LBB19_25:
	v_add_u32_e32 v2, s15, v0
	v_cmp_gt_i32_e32 vcc, s13, v2
	s_and_saveexec_b64 s[0:1], vcc
	s_cbranch_execnz .LBB19_28
	s_branch .LBB19_30
.LBB19_26:
	s_lshl_b64 s[16:17], s[2:3], 2
	s_add_u32 s16, s6, s16
	s_addc_u32 s17, s7, s17
	s_load_dword s13, s[16:17], 0x4
	s_waitcnt lgkmcnt(0)
	s_sub_i32 s15, s13, s12
	s_andn2_b64 vcc, exec, s[0:1]
	s_mov_b32 s13, 0
	s_cbranch_vccnz .LBB19_25
.LBB19_27:
	s_lshl_b64 s[0:1], s[2:3], 2
	s_add_u32 s0, s8, s0
	s_addc_u32 s1, s9, s1
	s_load_dword s0, s[0:1], 0x4
	s_waitcnt lgkmcnt(0)
	s_sub_i32 s13, s0, s12
	v_add_u32_e32 v2, s15, v0
	v_cmp_gt_i32_e32 vcc, s13, v2
	s_and_saveexec_b64 s[0:1], vcc
	s_cbranch_execz .LBB19_30
.LBB19_28:
	s_add_u32 s16, s14, s12
	s_addc_u32 s17, 0, 0
	s_mov_b64 s[14:15], 0
	v_mov_b64_e32 v[4:5], s[16:17]
.LBB19_29:                              ; =>This Inner Loop Header: Depth=1
	v_ashrrev_i32_e32 v3, 31, v2
	v_lshl_add_u64 v[6:7], v[2:3], 3, s[10:11]
	v_add_u32_e32 v2, 0x100, v2
	v_cmp_le_i32_e32 vcc, s13, v2
	s_or_b64 s[14:15], vcc, s[14:15]
	global_store_dwordx2 v[6:7], v[4:5], off
	s_andn2_b64 exec, exec, s[14:15]
	s_cbranch_execnz .LBB19_29
.LBB19_30:
	s_or_b64 exec, exec, s[0:1]
	ds_read_b32 v1, v1 offset:8
	s_waitcnt lgkmcnt(0)
	v_cmp_ne_u32_e32 vcc, 0, v1
	s_cbranch_vccnz .LBB19_39
.LBB19_31:
	s_or_b32 s14, s2, 2
	s_mov_b32 s15, 0
	v_mov_b64_e32 v[2:3], s[14:15]
	v_cmp_le_i64_e32 vcc, s[4:5], v[2:3]
	v_cmp_gt_i64_e64 s[0:1], s[4:5], v[2:3]
	s_mov_b32 s13, s15
	s_cbranch_vccz .LBB19_34
; %bb.32:
	s_andn2_b64 vcc, exec, s[0:1]
	s_cbranch_vccz .LBB19_35
.LBB19_33:
	v_add_u32_e32 v2, s13, v0
	v_cmp_gt_i32_e32 vcc, s15, v2
	s_and_saveexec_b64 s[0:1], vcc
	s_cbranch_execnz .LBB19_36
	s_branch .LBB19_38
.LBB19_34:
	s_lshl_b64 s[16:17], s[2:3], 2
	s_add_u32 s16, s6, s16
	s_addc_u32 s17, s7, s17
	s_load_dword s13, s[16:17], 0x8
	s_waitcnt lgkmcnt(0)
	s_sub_i32 s13, s13, s12
	s_andn2_b64 vcc, exec, s[0:1]
	s_cbranch_vccnz .LBB19_33
.LBB19_35:
	s_lshl_b64 s[0:1], s[2:3], 2
	s_add_u32 s0, s8, s0
	s_addc_u32 s1, s9, s1
	s_load_dword s0, s[0:1], 0x8
	s_waitcnt lgkmcnt(0)
	s_sub_i32 s15, s0, s12
	v_add_u32_e32 v2, s13, v0
	v_cmp_gt_i32_e32 vcc, s15, v2
	s_and_saveexec_b64 s[0:1], vcc
	s_cbranch_execz .LBB19_38
.LBB19_36:
	s_add_u32 s18, s14, s12
	s_addc_u32 s19, 0, 0
	s_mov_b64 s[16:17], 0
	v_mov_b64_e32 v[4:5], s[18:19]
.LBB19_37:                              ; =>This Inner Loop Header: Depth=1
	v_ashrrev_i32_e32 v3, 31, v2
	v_lshl_add_u64 v[6:7], v[2:3], 3, s[10:11]
	v_add_u32_e32 v2, 0x100, v2
	v_cmp_le_i32_e32 vcc, s15, v2
	s_or_b64 s[16:17], vcc, s[16:17]
	global_store_dwordx2 v[6:7], v[4:5], off
	s_andn2_b64 exec, exec, s[16:17]
	s_cbranch_execnz .LBB19_37
.LBB19_38:
	s_or_b64 exec, exec, s[0:1]
.LBB19_39:
	v_mov_b32_e32 v1, 0
	ds_read_b32 v2, v1 offset:12
	s_mov_b32 s15, 0
	s_waitcnt lgkmcnt(0)
	v_cmp_ne_u32_e32 vcc, 0, v2
	s_cbranch_vccz .LBB19_41
; %bb.40:
	ds_read_b32 v1, v1 offset:16
	s_waitcnt lgkmcnt(0)
	v_cmp_ne_u32_e32 vcc, 0, v1
	s_cbranch_vccnz .LBB19_57
	s_branch .LBB19_49
.LBB19_41:
	s_or_b32 s14, s2, 3
	v_mov_b64_e32 v[2:3], s[14:15]
	v_cmp_le_i64_e32 vcc, s[4:5], v[2:3]
	v_cmp_gt_i64_e64 s[0:1], s[4:5], v[2:3]
	s_cbranch_vccz .LBB19_44
; %bb.42:
	s_andn2_b64 vcc, exec, s[0:1]
	s_mov_b32 s13, 0
	s_cbranch_vccz .LBB19_45
.LBB19_43:
	v_add_u32_e32 v2, s15, v0
	v_cmp_gt_i32_e32 vcc, s13, v2
	s_and_saveexec_b64 s[0:1], vcc
	s_cbranch_execnz .LBB19_46
	s_branch .LBB19_48
.LBB19_44:
	s_lshl_b64 s[16:17], s[2:3], 2
	s_add_u32 s16, s6, s16
	s_addc_u32 s17, s7, s17
	s_load_dword s13, s[16:17], 0xc
	s_waitcnt lgkmcnt(0)
	s_sub_i32 s15, s13, s12
	s_andn2_b64 vcc, exec, s[0:1]
	s_mov_b32 s13, 0
	s_cbranch_vccnz .LBB19_43
.LBB19_45:
	s_lshl_b64 s[0:1], s[2:3], 2
	s_add_u32 s0, s8, s0
	s_addc_u32 s1, s9, s1
	s_load_dword s0, s[0:1], 0xc
	s_waitcnt lgkmcnt(0)
	s_sub_i32 s13, s0, s12
	v_add_u32_e32 v2, s15, v0
	v_cmp_gt_i32_e32 vcc, s13, v2
	s_and_saveexec_b64 s[0:1], vcc
	s_cbranch_execz .LBB19_48
.LBB19_46:
	s_add_u32 s16, s14, s12
	s_addc_u32 s17, 0, 0
	s_mov_b64 s[14:15], 0
	v_mov_b64_e32 v[4:5], s[16:17]
.LBB19_47:                              ; =>This Inner Loop Header: Depth=1
	v_ashrrev_i32_e32 v3, 31, v2
	v_lshl_add_u64 v[6:7], v[2:3], 3, s[10:11]
	v_add_u32_e32 v2, 0x100, v2
	v_cmp_le_i32_e32 vcc, s13, v2
	s_or_b64 s[14:15], vcc, s[14:15]
	global_store_dwordx2 v[6:7], v[4:5], off
	s_andn2_b64 exec, exec, s[14:15]
	s_cbranch_execnz .LBB19_47
.LBB19_48:
	s_or_b64 exec, exec, s[0:1]
	ds_read_b32 v1, v1 offset:16
	s_waitcnt lgkmcnt(0)
	v_cmp_ne_u32_e32 vcc, 0, v1
	s_cbranch_vccnz .LBB19_57
.LBB19_49:
	s_or_b32 s14, s2, 4
	s_mov_b32 s15, 0
	v_mov_b64_e32 v[2:3], s[14:15]
	v_cmp_le_i64_e32 vcc, s[4:5], v[2:3]
	v_cmp_gt_i64_e64 s[0:1], s[4:5], v[2:3]
	s_mov_b32 s13, s15
	s_cbranch_vccz .LBB19_52
; %bb.50:
	s_andn2_b64 vcc, exec, s[0:1]
	s_cbranch_vccz .LBB19_53
.LBB19_51:
	v_add_u32_e32 v2, s13, v0
	v_cmp_gt_i32_e32 vcc, s15, v2
	s_and_saveexec_b64 s[0:1], vcc
	s_cbranch_execnz .LBB19_54
	s_branch .LBB19_56
.LBB19_52:
	s_lshl_b64 s[16:17], s[2:3], 2
	s_add_u32 s16, s6, s16
	s_addc_u32 s17, s7, s17
	s_load_dword s13, s[16:17], 0x10
	s_waitcnt lgkmcnt(0)
	s_sub_i32 s13, s13, s12
	s_andn2_b64 vcc, exec, s[0:1]
	s_cbranch_vccnz .LBB19_51
.LBB19_53:
	s_lshl_b64 s[0:1], s[2:3], 2
	s_add_u32 s0, s8, s0
	s_addc_u32 s1, s9, s1
	s_load_dword s0, s[0:1], 0x10
	s_waitcnt lgkmcnt(0)
	s_sub_i32 s15, s0, s12
	v_add_u32_e32 v2, s13, v0
	v_cmp_gt_i32_e32 vcc, s15, v2
	s_and_saveexec_b64 s[0:1], vcc
	s_cbranch_execz .LBB19_56
.LBB19_54:
	s_add_u32 s18, s14, s12
	s_addc_u32 s19, 0, 0
	s_mov_b64 s[16:17], 0
	v_mov_b64_e32 v[4:5], s[18:19]
.LBB19_55:                              ; =>This Inner Loop Header: Depth=1
	v_ashrrev_i32_e32 v3, 31, v2
	v_lshl_add_u64 v[6:7], v[2:3], 3, s[10:11]
	v_add_u32_e32 v2, 0x100, v2
	v_cmp_le_i32_e32 vcc, s15, v2
	s_or_b64 s[16:17], vcc, s[16:17]
	global_store_dwordx2 v[6:7], v[4:5], off
	s_andn2_b64 exec, exec, s[16:17]
	s_cbranch_execnz .LBB19_55
.LBB19_56:
	s_or_b64 exec, exec, s[0:1]
.LBB19_57:
	v_mov_b32_e32 v1, 0
	ds_read_b32 v2, v1 offset:20
	s_mov_b32 s15, 0
	s_waitcnt lgkmcnt(0)
	v_cmp_ne_u32_e32 vcc, 0, v2
	s_cbranch_vccz .LBB19_59
; %bb.58:
	ds_read_b32 v1, v1 offset:24
	s_waitcnt lgkmcnt(0)
	v_cmp_ne_u32_e32 vcc, 0, v1
	s_cbranch_vccnz .LBB19_75
	s_branch .LBB19_67
.LBB19_59:
	s_or_b32 s14, s2, 5
	v_mov_b64_e32 v[2:3], s[14:15]
	v_cmp_le_i64_e32 vcc, s[4:5], v[2:3]
	v_cmp_gt_i64_e64 s[0:1], s[4:5], v[2:3]
	s_cbranch_vccz .LBB19_62
; %bb.60:
	s_andn2_b64 vcc, exec, s[0:1]
	s_mov_b32 s13, 0
	s_cbranch_vccz .LBB19_63
.LBB19_61:
	v_add_u32_e32 v2, s15, v0
	v_cmp_gt_i32_e32 vcc, s13, v2
	s_and_saveexec_b64 s[0:1], vcc
	s_cbranch_execnz .LBB19_64
	s_branch .LBB19_66
.LBB19_62:
	s_lshl_b64 s[16:17], s[2:3], 2
	s_add_u32 s16, s6, s16
	s_addc_u32 s17, s7, s17
	s_load_dword s13, s[16:17], 0x14
	s_waitcnt lgkmcnt(0)
	s_sub_i32 s15, s13, s12
	s_andn2_b64 vcc, exec, s[0:1]
	s_mov_b32 s13, 0
	s_cbranch_vccnz .LBB19_61
.LBB19_63:
	s_lshl_b64 s[0:1], s[2:3], 2
	s_add_u32 s0, s8, s0
	s_addc_u32 s1, s9, s1
	s_load_dword s0, s[0:1], 0x14
	s_waitcnt lgkmcnt(0)
	s_sub_i32 s13, s0, s12
	v_add_u32_e32 v2, s15, v0
	v_cmp_gt_i32_e32 vcc, s13, v2
	s_and_saveexec_b64 s[0:1], vcc
	s_cbranch_execz .LBB19_66
.LBB19_64:
	s_add_u32 s16, s14, s12
	s_addc_u32 s17, 0, 0
	s_mov_b64 s[14:15], 0
	v_mov_b64_e32 v[4:5], s[16:17]
.LBB19_65:                              ; =>This Inner Loop Header: Depth=1
	v_ashrrev_i32_e32 v3, 31, v2
	v_lshl_add_u64 v[6:7], v[2:3], 3, s[10:11]
	v_add_u32_e32 v2, 0x100, v2
	v_cmp_le_i32_e32 vcc, s13, v2
	s_or_b64 s[14:15], vcc, s[14:15]
	global_store_dwordx2 v[6:7], v[4:5], off
	s_andn2_b64 exec, exec, s[14:15]
	s_cbranch_execnz .LBB19_65
.LBB19_66:
	s_or_b64 exec, exec, s[0:1]
	ds_read_b32 v1, v1 offset:24
	s_waitcnt lgkmcnt(0)
	v_cmp_ne_u32_e32 vcc, 0, v1
	s_cbranch_vccnz .LBB19_75
.LBB19_67:
	s_or_b32 s14, s2, 6
	s_mov_b32 s15, 0
	v_mov_b64_e32 v[2:3], s[14:15]
	v_cmp_le_i64_e32 vcc, s[4:5], v[2:3]
	v_cmp_gt_i64_e64 s[0:1], s[4:5], v[2:3]
	s_mov_b32 s13, s15
	s_cbranch_vccz .LBB19_70
; %bb.68:
	s_andn2_b64 vcc, exec, s[0:1]
	s_cbranch_vccz .LBB19_71
.LBB19_69:
	v_add_u32_e32 v2, s13, v0
	v_cmp_gt_i32_e32 vcc, s15, v2
	s_and_saveexec_b64 s[0:1], vcc
	s_cbranch_execnz .LBB19_72
	s_branch .LBB19_74
.LBB19_70:
	s_lshl_b64 s[16:17], s[2:3], 2
	s_add_u32 s16, s6, s16
	s_addc_u32 s17, s7, s17
	s_load_dword s13, s[16:17], 0x18
	s_waitcnt lgkmcnt(0)
	s_sub_i32 s13, s13, s12
	s_andn2_b64 vcc, exec, s[0:1]
	s_cbranch_vccnz .LBB19_69
.LBB19_71:
	s_lshl_b64 s[0:1], s[2:3], 2
	s_add_u32 s0, s8, s0
	s_addc_u32 s1, s9, s1
	s_load_dword s0, s[0:1], 0x18
	s_waitcnt lgkmcnt(0)
	s_sub_i32 s15, s0, s12
	v_add_u32_e32 v2, s13, v0
	v_cmp_gt_i32_e32 vcc, s15, v2
	s_and_saveexec_b64 s[0:1], vcc
	s_cbranch_execz .LBB19_74
.LBB19_72:
	s_add_u32 s18, s14, s12
	s_addc_u32 s19, 0, 0
	s_mov_b64 s[16:17], 0
	v_mov_b64_e32 v[4:5], s[18:19]
.LBB19_73:                              ; =>This Inner Loop Header: Depth=1
	v_ashrrev_i32_e32 v3, 31, v2
	v_lshl_add_u64 v[6:7], v[2:3], 3, s[10:11]
	v_add_u32_e32 v2, 0x100, v2
	v_cmp_le_i32_e32 vcc, s15, v2
	s_or_b64 s[16:17], vcc, s[16:17]
	global_store_dwordx2 v[6:7], v[4:5], off
	s_andn2_b64 exec, exec, s[16:17]
	s_cbranch_execnz .LBB19_73
.LBB19_74:
	s_or_b64 exec, exec, s[0:1]
.LBB19_75:
	v_mov_b32_e32 v1, 0
	ds_read_b32 v2, v1 offset:28
	s_mov_b32 s15, 0
	s_waitcnt lgkmcnt(0)
	v_cmp_ne_u32_e32 vcc, 0, v2
	s_cbranch_vccz .LBB19_77
; %bb.76:
	ds_read_b32 v1, v1 offset:32
	s_waitcnt lgkmcnt(0)
	v_cmp_ne_u32_e32 vcc, 0, v1
	s_cbranch_vccnz .LBB19_93
	s_branch .LBB19_85
.LBB19_77:
	s_or_b32 s14, s2, 7
	v_mov_b64_e32 v[2:3], s[14:15]
	v_cmp_le_i64_e32 vcc, s[4:5], v[2:3]
	v_cmp_gt_i64_e64 s[0:1], s[4:5], v[2:3]
	s_cbranch_vccz .LBB19_80
; %bb.78:
	s_andn2_b64 vcc, exec, s[0:1]
	s_mov_b32 s13, 0
	s_cbranch_vccz .LBB19_81
.LBB19_79:
	v_add_u32_e32 v2, s15, v0
	v_cmp_gt_i32_e32 vcc, s13, v2
	s_and_saveexec_b64 s[0:1], vcc
	s_cbranch_execnz .LBB19_82
	s_branch .LBB19_84
.LBB19_80:
	s_lshl_b64 s[16:17], s[2:3], 2
	s_add_u32 s16, s6, s16
	s_addc_u32 s17, s7, s17
	s_load_dword s13, s[16:17], 0x1c
	s_waitcnt lgkmcnt(0)
	s_sub_i32 s15, s13, s12
	s_andn2_b64 vcc, exec, s[0:1]
	s_mov_b32 s13, 0
	s_cbranch_vccnz .LBB19_79
.LBB19_81:
	s_lshl_b64 s[0:1], s[2:3], 2
	s_add_u32 s0, s8, s0
	s_addc_u32 s1, s9, s1
	s_load_dword s0, s[0:1], 0x1c
	s_waitcnt lgkmcnt(0)
	s_sub_i32 s13, s0, s12
	v_add_u32_e32 v2, s15, v0
	v_cmp_gt_i32_e32 vcc, s13, v2
	s_and_saveexec_b64 s[0:1], vcc
	s_cbranch_execz .LBB19_84
.LBB19_82:
	s_add_u32 s16, s14, s12
	s_addc_u32 s17, 0, 0
	s_mov_b64 s[14:15], 0
	v_mov_b64_e32 v[4:5], s[16:17]
.LBB19_83:                              ; =>This Inner Loop Header: Depth=1
	v_ashrrev_i32_e32 v3, 31, v2
	v_lshl_add_u64 v[6:7], v[2:3], 3, s[10:11]
	v_add_u32_e32 v2, 0x100, v2
	v_cmp_le_i32_e32 vcc, s13, v2
	s_or_b64 s[14:15], vcc, s[14:15]
	global_store_dwordx2 v[6:7], v[4:5], off
	s_andn2_b64 exec, exec, s[14:15]
	s_cbranch_execnz .LBB19_83
.LBB19_84:
	s_or_b64 exec, exec, s[0:1]
	ds_read_b32 v1, v1 offset:32
	s_waitcnt lgkmcnt(0)
	v_cmp_ne_u32_e32 vcc, 0, v1
	s_cbranch_vccnz .LBB19_93
.LBB19_85:
	s_or_b32 s14, s2, 8
	s_mov_b32 s15, 0
	v_mov_b64_e32 v[2:3], s[14:15]
	v_cmp_le_i64_e32 vcc, s[4:5], v[2:3]
	v_cmp_gt_i64_e64 s[0:1], s[4:5], v[2:3]
	s_mov_b32 s13, s15
	s_cbranch_vccz .LBB19_88
; %bb.86:
	s_andn2_b64 vcc, exec, s[0:1]
	s_cbranch_vccz .LBB19_89
.LBB19_87:
	v_add_u32_e32 v2, s13, v0
	v_cmp_gt_i32_e32 vcc, s15, v2
	s_and_saveexec_b64 s[0:1], vcc
	s_cbranch_execnz .LBB19_90
	s_branch .LBB19_92
.LBB19_88:
	s_lshl_b64 s[16:17], s[2:3], 2
	s_add_u32 s16, s6, s16
	s_addc_u32 s17, s7, s17
	s_load_dword s13, s[16:17], 0x20
	s_waitcnt lgkmcnt(0)
	s_sub_i32 s13, s13, s12
	s_andn2_b64 vcc, exec, s[0:1]
	s_cbranch_vccnz .LBB19_87
.LBB19_89:
	s_lshl_b64 s[0:1], s[2:3], 2
	s_add_u32 s0, s8, s0
	s_addc_u32 s1, s9, s1
	s_load_dword s0, s[0:1], 0x20
	s_waitcnt lgkmcnt(0)
	s_sub_i32 s15, s0, s12
	v_add_u32_e32 v2, s13, v0
	v_cmp_gt_i32_e32 vcc, s15, v2
	s_and_saveexec_b64 s[0:1], vcc
	s_cbranch_execz .LBB19_92
.LBB19_90:
	s_add_u32 s18, s14, s12
	s_addc_u32 s19, 0, 0
	s_mov_b64 s[16:17], 0
	v_mov_b64_e32 v[4:5], s[18:19]
.LBB19_91:                              ; =>This Inner Loop Header: Depth=1
	v_ashrrev_i32_e32 v3, 31, v2
	v_lshl_add_u64 v[6:7], v[2:3], 3, s[10:11]
	v_add_u32_e32 v2, 0x100, v2
	v_cmp_le_i32_e32 vcc, s15, v2
	s_or_b64 s[16:17], vcc, s[16:17]
	global_store_dwordx2 v[6:7], v[4:5], off
	s_andn2_b64 exec, exec, s[16:17]
	s_cbranch_execnz .LBB19_91
.LBB19_92:
	s_or_b64 exec, exec, s[0:1]
.LBB19_93:
	v_mov_b32_e32 v1, 0
	ds_read_b32 v2, v1 offset:36
	s_mov_b32 s15, 0
	s_waitcnt lgkmcnt(0)
	v_cmp_ne_u32_e32 vcc, 0, v2
	s_cbranch_vccz .LBB19_95
; %bb.94:
	ds_read_b32 v1, v1 offset:40
	s_waitcnt lgkmcnt(0)
	v_cmp_ne_u32_e32 vcc, 0, v1
	s_cbranch_vccnz .LBB19_111
	s_branch .LBB19_103
.LBB19_95:
	s_or_b32 s14, s2, 9
	v_mov_b64_e32 v[2:3], s[14:15]
	v_cmp_le_i64_e32 vcc, s[4:5], v[2:3]
	v_cmp_gt_i64_e64 s[0:1], s[4:5], v[2:3]
	s_cbranch_vccz .LBB19_98
; %bb.96:
	s_andn2_b64 vcc, exec, s[0:1]
	s_mov_b32 s13, 0
	s_cbranch_vccz .LBB19_99
.LBB19_97:
	v_add_u32_e32 v2, s15, v0
	v_cmp_gt_i32_e32 vcc, s13, v2
	s_and_saveexec_b64 s[0:1], vcc
	s_cbranch_execnz .LBB19_100
	s_branch .LBB19_102
.LBB19_98:
	s_lshl_b64 s[16:17], s[2:3], 2
	s_add_u32 s16, s6, s16
	s_addc_u32 s17, s7, s17
	s_load_dword s13, s[16:17], 0x24
	s_waitcnt lgkmcnt(0)
	s_sub_i32 s15, s13, s12
	s_andn2_b64 vcc, exec, s[0:1]
	s_mov_b32 s13, 0
	s_cbranch_vccnz .LBB19_97
.LBB19_99:
	s_lshl_b64 s[0:1], s[2:3], 2
	s_add_u32 s0, s8, s0
	s_addc_u32 s1, s9, s1
	s_load_dword s0, s[0:1], 0x24
	s_waitcnt lgkmcnt(0)
	s_sub_i32 s13, s0, s12
	v_add_u32_e32 v2, s15, v0
	v_cmp_gt_i32_e32 vcc, s13, v2
	s_and_saveexec_b64 s[0:1], vcc
	s_cbranch_execz .LBB19_102
.LBB19_100:
	s_add_u32 s16, s14, s12
	s_addc_u32 s17, 0, 0
	s_mov_b64 s[14:15], 0
	v_mov_b64_e32 v[4:5], s[16:17]
.LBB19_101:                             ; =>This Inner Loop Header: Depth=1
	v_ashrrev_i32_e32 v3, 31, v2
	v_lshl_add_u64 v[6:7], v[2:3], 3, s[10:11]
	v_add_u32_e32 v2, 0x100, v2
	v_cmp_le_i32_e32 vcc, s13, v2
	s_or_b64 s[14:15], vcc, s[14:15]
	global_store_dwordx2 v[6:7], v[4:5], off
	s_andn2_b64 exec, exec, s[14:15]
	s_cbranch_execnz .LBB19_101
.LBB19_102:
	s_or_b64 exec, exec, s[0:1]
	ds_read_b32 v1, v1 offset:40
	s_waitcnt lgkmcnt(0)
	v_cmp_ne_u32_e32 vcc, 0, v1
	s_cbranch_vccnz .LBB19_111
.LBB19_103:
	s_or_b32 s14, s2, 10
	s_mov_b32 s15, 0
	v_mov_b64_e32 v[2:3], s[14:15]
	v_cmp_le_i64_e32 vcc, s[4:5], v[2:3]
	v_cmp_gt_i64_e64 s[0:1], s[4:5], v[2:3]
	s_mov_b32 s13, s15
	s_cbranch_vccz .LBB19_106
; %bb.104:
	s_andn2_b64 vcc, exec, s[0:1]
	s_cbranch_vccz .LBB19_107
.LBB19_105:
	v_add_u32_e32 v2, s13, v0
	v_cmp_gt_i32_e32 vcc, s15, v2
	s_and_saveexec_b64 s[0:1], vcc
	s_cbranch_execnz .LBB19_108
	s_branch .LBB19_110
.LBB19_106:
	s_lshl_b64 s[16:17], s[2:3], 2
	s_add_u32 s16, s6, s16
	s_addc_u32 s17, s7, s17
	s_load_dword s13, s[16:17], 0x28
	s_waitcnt lgkmcnt(0)
	s_sub_i32 s13, s13, s12
	s_andn2_b64 vcc, exec, s[0:1]
	s_cbranch_vccnz .LBB19_105
.LBB19_107:
	s_lshl_b64 s[0:1], s[2:3], 2
	s_add_u32 s0, s8, s0
	s_addc_u32 s1, s9, s1
	s_load_dword s0, s[0:1], 0x28
	s_waitcnt lgkmcnt(0)
	s_sub_i32 s15, s0, s12
	v_add_u32_e32 v2, s13, v0
	v_cmp_gt_i32_e32 vcc, s15, v2
	s_and_saveexec_b64 s[0:1], vcc
	s_cbranch_execz .LBB19_110
.LBB19_108:
	s_add_u32 s18, s14, s12
	s_addc_u32 s19, 0, 0
	s_mov_b64 s[16:17], 0
	v_mov_b64_e32 v[4:5], s[18:19]
.LBB19_109:                             ; =>This Inner Loop Header: Depth=1
	v_ashrrev_i32_e32 v3, 31, v2
	v_lshl_add_u64 v[6:7], v[2:3], 3, s[10:11]
	v_add_u32_e32 v2, 0x100, v2
	v_cmp_le_i32_e32 vcc, s15, v2
	s_or_b64 s[16:17], vcc, s[16:17]
	global_store_dwordx2 v[6:7], v[4:5], off
	s_andn2_b64 exec, exec, s[16:17]
	s_cbranch_execnz .LBB19_109
.LBB19_110:
	s_or_b64 exec, exec, s[0:1]
.LBB19_111:
	v_mov_b32_e32 v1, 0
	ds_read_b32 v2, v1 offset:44
	s_mov_b32 s15, 0
	s_waitcnt lgkmcnt(0)
	v_cmp_ne_u32_e32 vcc, 0, v2
	s_cbranch_vccz .LBB19_113
; %bb.112:
	ds_read_b32 v1, v1 offset:48
	s_waitcnt lgkmcnt(0)
	v_cmp_ne_u32_e32 vcc, 0, v1
	s_cbranch_vccnz .LBB19_129
	s_branch .LBB19_121
.LBB19_113:
	s_or_b32 s14, s2, 11
	v_mov_b64_e32 v[2:3], s[14:15]
	v_cmp_le_i64_e32 vcc, s[4:5], v[2:3]
	v_cmp_gt_i64_e64 s[0:1], s[4:5], v[2:3]
	s_cbranch_vccz .LBB19_116
; %bb.114:
	s_andn2_b64 vcc, exec, s[0:1]
	s_mov_b32 s13, 0
	s_cbranch_vccz .LBB19_117
.LBB19_115:
	v_add_u32_e32 v2, s15, v0
	v_cmp_gt_i32_e32 vcc, s13, v2
	s_and_saveexec_b64 s[0:1], vcc
	s_cbranch_execnz .LBB19_118
	s_branch .LBB19_120
.LBB19_116:
	s_lshl_b64 s[16:17], s[2:3], 2
	s_add_u32 s16, s6, s16
	s_addc_u32 s17, s7, s17
	s_load_dword s13, s[16:17], 0x2c
	s_waitcnt lgkmcnt(0)
	s_sub_i32 s15, s13, s12
	s_andn2_b64 vcc, exec, s[0:1]
	s_mov_b32 s13, 0
	s_cbranch_vccnz .LBB19_115
.LBB19_117:
	s_lshl_b64 s[0:1], s[2:3], 2
	s_add_u32 s0, s8, s0
	s_addc_u32 s1, s9, s1
	s_load_dword s0, s[0:1], 0x2c
	s_waitcnt lgkmcnt(0)
	s_sub_i32 s13, s0, s12
	v_add_u32_e32 v2, s15, v0
	v_cmp_gt_i32_e32 vcc, s13, v2
	s_and_saveexec_b64 s[0:1], vcc
	s_cbranch_execz .LBB19_120
.LBB19_118:
	s_add_u32 s16, s14, s12
	s_addc_u32 s17, 0, 0
	s_mov_b64 s[14:15], 0
	v_mov_b64_e32 v[4:5], s[16:17]
.LBB19_119:                             ; =>This Inner Loop Header: Depth=1
	v_ashrrev_i32_e32 v3, 31, v2
	v_lshl_add_u64 v[6:7], v[2:3], 3, s[10:11]
	v_add_u32_e32 v2, 0x100, v2
	v_cmp_le_i32_e32 vcc, s13, v2
	s_or_b64 s[14:15], vcc, s[14:15]
	global_store_dwordx2 v[6:7], v[4:5], off
	s_andn2_b64 exec, exec, s[14:15]
	s_cbranch_execnz .LBB19_119
.LBB19_120:
	s_or_b64 exec, exec, s[0:1]
	ds_read_b32 v1, v1 offset:48
	s_waitcnt lgkmcnt(0)
	v_cmp_ne_u32_e32 vcc, 0, v1
	s_cbranch_vccnz .LBB19_129
.LBB19_121:
	s_or_b32 s14, s2, 12
	s_mov_b32 s15, 0
	v_mov_b64_e32 v[2:3], s[14:15]
	v_cmp_le_i64_e32 vcc, s[4:5], v[2:3]
	v_cmp_gt_i64_e64 s[0:1], s[4:5], v[2:3]
	s_mov_b32 s13, s15
	s_cbranch_vccz .LBB19_124
; %bb.122:
	s_andn2_b64 vcc, exec, s[0:1]
	s_cbranch_vccz .LBB19_125
.LBB19_123:
	v_add_u32_e32 v2, s13, v0
	v_cmp_gt_i32_e32 vcc, s15, v2
	s_and_saveexec_b64 s[0:1], vcc
	s_cbranch_execnz .LBB19_126
	s_branch .LBB19_128
.LBB19_124:
	s_lshl_b64 s[16:17], s[2:3], 2
	s_add_u32 s16, s6, s16
	s_addc_u32 s17, s7, s17
	s_load_dword s13, s[16:17], 0x30
	s_waitcnt lgkmcnt(0)
	s_sub_i32 s13, s13, s12
	s_andn2_b64 vcc, exec, s[0:1]
	s_cbranch_vccnz .LBB19_123
.LBB19_125:
	s_lshl_b64 s[0:1], s[2:3], 2
	s_add_u32 s0, s8, s0
	s_addc_u32 s1, s9, s1
	s_load_dword s0, s[0:1], 0x30
	s_waitcnt lgkmcnt(0)
	s_sub_i32 s15, s0, s12
	v_add_u32_e32 v2, s13, v0
	v_cmp_gt_i32_e32 vcc, s15, v2
	s_and_saveexec_b64 s[0:1], vcc
	s_cbranch_execz .LBB19_128
.LBB19_126:
	s_add_u32 s18, s14, s12
	s_addc_u32 s19, 0, 0
	s_mov_b64 s[16:17], 0
	v_mov_b64_e32 v[4:5], s[18:19]
.LBB19_127:                             ; =>This Inner Loop Header: Depth=1
	v_ashrrev_i32_e32 v3, 31, v2
	v_lshl_add_u64 v[6:7], v[2:3], 3, s[10:11]
	v_add_u32_e32 v2, 0x100, v2
	v_cmp_le_i32_e32 vcc, s15, v2
	s_or_b64 s[16:17], vcc, s[16:17]
	global_store_dwordx2 v[6:7], v[4:5], off
	s_andn2_b64 exec, exec, s[16:17]
	s_cbranch_execnz .LBB19_127
.LBB19_128:
	s_or_b64 exec, exec, s[0:1]
.LBB19_129:
	v_mov_b32_e32 v1, 0
	ds_read_b32 v2, v1 offset:52
	s_mov_b32 s15, 0
	s_waitcnt lgkmcnt(0)
	v_cmp_ne_u32_e32 vcc, 0, v2
	s_cbranch_vccz .LBB19_131
; %bb.130:
	ds_read_b32 v1, v1 offset:56
	s_waitcnt lgkmcnt(0)
	v_cmp_ne_u32_e32 vcc, 0, v1
	s_cbranch_vccnz .LBB19_147
	s_branch .LBB19_139
.LBB19_131:
	s_or_b32 s14, s2, 13
	v_mov_b64_e32 v[2:3], s[14:15]
	v_cmp_le_i64_e32 vcc, s[4:5], v[2:3]
	v_cmp_gt_i64_e64 s[0:1], s[4:5], v[2:3]
	s_cbranch_vccz .LBB19_134
; %bb.132:
	s_andn2_b64 vcc, exec, s[0:1]
	s_mov_b32 s13, 0
	s_cbranch_vccz .LBB19_135
.LBB19_133:
	v_add_u32_e32 v2, s15, v0
	v_cmp_gt_i32_e32 vcc, s13, v2
	s_and_saveexec_b64 s[0:1], vcc
	s_cbranch_execnz .LBB19_136
	s_branch .LBB19_138
.LBB19_134:
	s_lshl_b64 s[16:17], s[2:3], 2
	s_add_u32 s16, s6, s16
	s_addc_u32 s17, s7, s17
	s_load_dword s13, s[16:17], 0x34
	s_waitcnt lgkmcnt(0)
	s_sub_i32 s15, s13, s12
	s_andn2_b64 vcc, exec, s[0:1]
	s_mov_b32 s13, 0
	s_cbranch_vccnz .LBB19_133
.LBB19_135:
	s_lshl_b64 s[0:1], s[2:3], 2
	s_add_u32 s0, s8, s0
	s_addc_u32 s1, s9, s1
	s_load_dword s0, s[0:1], 0x34
	s_waitcnt lgkmcnt(0)
	s_sub_i32 s13, s0, s12
	v_add_u32_e32 v2, s15, v0
	v_cmp_gt_i32_e32 vcc, s13, v2
	s_and_saveexec_b64 s[0:1], vcc
	s_cbranch_execz .LBB19_138
.LBB19_136:
	s_add_u32 s16, s14, s12
	s_addc_u32 s17, 0, 0
	s_mov_b64 s[14:15], 0
	v_mov_b64_e32 v[4:5], s[16:17]
.LBB19_137:                             ; =>This Inner Loop Header: Depth=1
	v_ashrrev_i32_e32 v3, 31, v2
	v_lshl_add_u64 v[6:7], v[2:3], 3, s[10:11]
	v_add_u32_e32 v2, 0x100, v2
	v_cmp_le_i32_e32 vcc, s13, v2
	s_or_b64 s[14:15], vcc, s[14:15]
	global_store_dwordx2 v[6:7], v[4:5], off
	s_andn2_b64 exec, exec, s[14:15]
	s_cbranch_execnz .LBB19_137
.LBB19_138:
	s_or_b64 exec, exec, s[0:1]
	ds_read_b32 v1, v1 offset:56
	s_waitcnt lgkmcnt(0)
	v_cmp_ne_u32_e32 vcc, 0, v1
	s_cbranch_vccnz .LBB19_147
.LBB19_139:
	s_or_b32 s14, s2, 14
	s_mov_b32 s15, 0
	v_mov_b64_e32 v[2:3], s[14:15]
	v_cmp_le_i64_e32 vcc, s[4:5], v[2:3]
	v_cmp_gt_i64_e64 s[0:1], s[4:5], v[2:3]
	s_mov_b32 s13, s15
	s_cbranch_vccz .LBB19_142
; %bb.140:
	s_andn2_b64 vcc, exec, s[0:1]
	s_cbranch_vccz .LBB19_143
.LBB19_141:
	v_add_u32_e32 v2, s13, v0
	v_cmp_gt_i32_e32 vcc, s15, v2
	s_and_saveexec_b64 s[0:1], vcc
	s_cbranch_execnz .LBB19_144
	s_branch .LBB19_146
.LBB19_142:
	s_lshl_b64 s[16:17], s[2:3], 2
	s_add_u32 s16, s6, s16
	s_addc_u32 s17, s7, s17
	s_load_dword s13, s[16:17], 0x38
	s_waitcnt lgkmcnt(0)
	s_sub_i32 s13, s13, s12
	s_andn2_b64 vcc, exec, s[0:1]
	s_cbranch_vccnz .LBB19_141
.LBB19_143:
	s_lshl_b64 s[0:1], s[2:3], 2
	s_add_u32 s0, s8, s0
	s_addc_u32 s1, s9, s1
	s_load_dword s0, s[0:1], 0x38
	s_waitcnt lgkmcnt(0)
	s_sub_i32 s15, s0, s12
	v_add_u32_e32 v2, s13, v0
	v_cmp_gt_i32_e32 vcc, s15, v2
	s_and_saveexec_b64 s[0:1], vcc
	s_cbranch_execz .LBB19_146
.LBB19_144:
	s_add_u32 s18, s14, s12
	s_addc_u32 s19, 0, 0
	s_mov_b64 s[16:17], 0
	v_mov_b64_e32 v[4:5], s[18:19]
.LBB19_145:                             ; =>This Inner Loop Header: Depth=1
	v_ashrrev_i32_e32 v3, 31, v2
	v_lshl_add_u64 v[6:7], v[2:3], 3, s[10:11]
	v_add_u32_e32 v2, 0x100, v2
	v_cmp_le_i32_e32 vcc, s15, v2
	s_or_b64 s[16:17], vcc, s[16:17]
	global_store_dwordx2 v[6:7], v[4:5], off
	s_andn2_b64 exec, exec, s[16:17]
	s_cbranch_execnz .LBB19_145
.LBB19_146:
	s_or_b64 exec, exec, s[0:1]
.LBB19_147:
	v_mov_b32_e32 v1, 0
	ds_read_b32 v1, v1 offset:60
	s_mov_b32 s15, 0
	s_waitcnt lgkmcnt(0)
	v_cmp_ne_u32_e32 vcc, 0, v1
	s_cbranch_vccnz .LBB19_155
; %bb.148:
	s_or_b32 s14, s2, 15
	v_mov_b64_e32 v[2:3], s[14:15]
	v_cmp_le_i64_e32 vcc, s[4:5], v[2:3]
	v_cmp_gt_i64_e64 s[0:1], s[4:5], v[2:3]
	s_cbranch_vccz .LBB19_151
; %bb.149:
	s_andn2_b64 vcc, exec, s[0:1]
	s_mov_b32 s4, 0
	s_cbranch_vccz .LBB19_152
.LBB19_150:
	v_add_u32_e32 v0, s15, v0
	v_cmp_gt_i32_e32 vcc, s4, v0
	s_and_saveexec_b64 s[0:1], vcc
	s_cbranch_execnz .LBB19_153
	s_branch .LBB19_155
.LBB19_151:
	s_lshl_b64 s[4:5], s[2:3], 2
	s_add_u32 s4, s6, s4
	s_addc_u32 s5, s7, s5
	s_load_dword s4, s[4:5], 0x3c
	s_waitcnt lgkmcnt(0)
	s_sub_i32 s15, s4, s12
	s_andn2_b64 vcc, exec, s[0:1]
	s_mov_b32 s4, 0
	s_cbranch_vccnz .LBB19_150
.LBB19_152:
	s_lshl_b64 s[0:1], s[2:3], 2
	s_add_u32 s0, s8, s0
	s_addc_u32 s1, s9, s1
	s_load_dword s0, s[0:1], 0x3c
	s_waitcnt lgkmcnt(0)
	s_sub_i32 s4, s0, s12
	v_add_u32_e32 v0, s15, v0
	v_cmp_gt_i32_e32 vcc, s4, v0
	s_and_saveexec_b64 s[0:1], vcc
	s_cbranch_execz .LBB19_155
.LBB19_153:
	s_add_u32 s2, s14, s12
	s_addc_u32 s3, 0, 0
	s_mov_b64 s[0:1], 0
	v_mov_b64_e32 v[2:3], s[2:3]
.LBB19_154:                             ; =>This Inner Loop Header: Depth=1
	v_ashrrev_i32_e32 v1, 31, v0
	v_lshl_add_u64 v[4:5], v[0:1], 3, s[10:11]
	v_add_u32_e32 v0, 0x100, v0
	v_cmp_le_i32_e32 vcc, s4, v0
	s_or_b64 s[0:1], vcc, s[0:1]
	global_store_dwordx2 v[4:5], v[2:3], off
	s_andn2_b64 exec, exec, s[0:1]
	s_cbranch_execnz .LBB19_154
.LBB19_155:
	s_endpgm
	.section	.rodata,"a",@progbits
	.p2align	6, 0x0
	.amdhsa_kernel _ZN9rocsparseL14csr2coo_kernelILj256ELj16EilEEvT2_PKT1_S4_PS1_21rocsparse_index_base_
		.amdhsa_group_segment_fixed_size 68
		.amdhsa_private_segment_fixed_size 0
		.amdhsa_kernarg_size 36
		.amdhsa_user_sgpr_count 2
		.amdhsa_user_sgpr_dispatch_ptr 0
		.amdhsa_user_sgpr_queue_ptr 0
		.amdhsa_user_sgpr_kernarg_segment_ptr 1
		.amdhsa_user_sgpr_dispatch_id 0
		.amdhsa_user_sgpr_kernarg_preload_length 0
		.amdhsa_user_sgpr_kernarg_preload_offset 0
		.amdhsa_user_sgpr_private_segment_size 0
		.amdhsa_uses_dynamic_stack 0
		.amdhsa_enable_private_segment 0
		.amdhsa_system_sgpr_workgroup_id_x 1
		.amdhsa_system_sgpr_workgroup_id_y 0
		.amdhsa_system_sgpr_workgroup_id_z 0
		.amdhsa_system_sgpr_workgroup_info 0
		.amdhsa_system_vgpr_workitem_id 0
		.amdhsa_next_free_vgpr 10
		.amdhsa_next_free_sgpr 20
		.amdhsa_accum_offset 12
		.amdhsa_reserve_vcc 1
		.amdhsa_float_round_mode_32 0
		.amdhsa_float_round_mode_16_64 0
		.amdhsa_float_denorm_mode_32 3
		.amdhsa_float_denorm_mode_16_64 3
		.amdhsa_dx10_clamp 1
		.amdhsa_ieee_mode 1
		.amdhsa_fp16_overflow 0
		.amdhsa_tg_split 0
		.amdhsa_exception_fp_ieee_invalid_op 0
		.amdhsa_exception_fp_denorm_src 0
		.amdhsa_exception_fp_ieee_div_zero 0
		.amdhsa_exception_fp_ieee_overflow 0
		.amdhsa_exception_fp_ieee_underflow 0
		.amdhsa_exception_fp_ieee_inexact 0
		.amdhsa_exception_int_div_zero 0
	.end_amdhsa_kernel
	.section	.text._ZN9rocsparseL14csr2coo_kernelILj256ELj16EilEEvT2_PKT1_S4_PS1_21rocsparse_index_base_,"axG",@progbits,_ZN9rocsparseL14csr2coo_kernelILj256ELj16EilEEvT2_PKT1_S4_PS1_21rocsparse_index_base_,comdat
.Lfunc_end19:
	.size	_ZN9rocsparseL14csr2coo_kernelILj256ELj16EilEEvT2_PKT1_S4_PS1_21rocsparse_index_base_, .Lfunc_end19-_ZN9rocsparseL14csr2coo_kernelILj256ELj16EilEEvT2_PKT1_S4_PS1_21rocsparse_index_base_
                                        ; -- End function
	.set _ZN9rocsparseL14csr2coo_kernelILj256ELj16EilEEvT2_PKT1_S4_PS1_21rocsparse_index_base_.num_vgpr, 10
	.set _ZN9rocsparseL14csr2coo_kernelILj256ELj16EilEEvT2_PKT1_S4_PS1_21rocsparse_index_base_.num_agpr, 0
	.set _ZN9rocsparseL14csr2coo_kernelILj256ELj16EilEEvT2_PKT1_S4_PS1_21rocsparse_index_base_.numbered_sgpr, 20
	.set _ZN9rocsparseL14csr2coo_kernelILj256ELj16EilEEvT2_PKT1_S4_PS1_21rocsparse_index_base_.num_named_barrier, 0
	.set _ZN9rocsparseL14csr2coo_kernelILj256ELj16EilEEvT2_PKT1_S4_PS1_21rocsparse_index_base_.private_seg_size, 0
	.set _ZN9rocsparseL14csr2coo_kernelILj256ELj16EilEEvT2_PKT1_S4_PS1_21rocsparse_index_base_.uses_vcc, 1
	.set _ZN9rocsparseL14csr2coo_kernelILj256ELj16EilEEvT2_PKT1_S4_PS1_21rocsparse_index_base_.uses_flat_scratch, 0
	.set _ZN9rocsparseL14csr2coo_kernelILj256ELj16EilEEvT2_PKT1_S4_PS1_21rocsparse_index_base_.has_dyn_sized_stack, 0
	.set _ZN9rocsparseL14csr2coo_kernelILj256ELj16EilEEvT2_PKT1_S4_PS1_21rocsparse_index_base_.has_recursion, 0
	.set _ZN9rocsparseL14csr2coo_kernelILj256ELj16EilEEvT2_PKT1_S4_PS1_21rocsparse_index_base_.has_indirect_call, 0
	.section	.AMDGPU.csdata,"",@progbits
; Kernel info:
; codeLenInByte = 4148
; TotalNumSgprs: 26
; NumVgprs: 10
; NumAgprs: 0
; TotalNumVgprs: 10
; ScratchSize: 0
; MemoryBound: 0
; FloatMode: 240
; IeeeMode: 1
; LDSByteSize: 68 bytes/workgroup (compile time only)
; SGPRBlocks: 3
; VGPRBlocks: 1
; NumSGPRsForWavesPerEU: 26
; NumVGPRsForWavesPerEU: 10
; AccumOffset: 12
; Occupancy: 8
; WaveLimiterHint : 0
; COMPUTE_PGM_RSRC2:SCRATCH_EN: 0
; COMPUTE_PGM_RSRC2:USER_SGPR: 2
; COMPUTE_PGM_RSRC2:TRAP_HANDLER: 0
; COMPUTE_PGM_RSRC2:TGID_X_EN: 1
; COMPUTE_PGM_RSRC2:TGID_Y_EN: 0
; COMPUTE_PGM_RSRC2:TGID_Z_EN: 0
; COMPUTE_PGM_RSRC2:TIDIG_COMP_CNT: 0
; COMPUTE_PGM_RSRC3_GFX90A:ACCUM_OFFSET: 2
; COMPUTE_PGM_RSRC3_GFX90A:TG_SPLIT: 0
	.section	.text._ZN9rocsparseL14csr2coo_kernelILj256ELj32EilEEvT2_PKT1_S4_PS1_21rocsparse_index_base_,"axG",@progbits,_ZN9rocsparseL14csr2coo_kernelILj256ELj32EilEEvT2_PKT1_S4_PS1_21rocsparse_index_base_,comdat
	.globl	_ZN9rocsparseL14csr2coo_kernelILj256ELj32EilEEvT2_PKT1_S4_PS1_21rocsparse_index_base_ ; -- Begin function _ZN9rocsparseL14csr2coo_kernelILj256ELj32EilEEvT2_PKT1_S4_PS1_21rocsparse_index_base_
	.p2align	8
	.type	_ZN9rocsparseL14csr2coo_kernelILj256ELj32EilEEvT2_PKT1_S4_PS1_21rocsparse_index_base_,@function
_ZN9rocsparseL14csr2coo_kernelILj256ELj32EilEEvT2_PKT1_S4_PS1_21rocsparse_index_base_: ; @_ZN9rocsparseL14csr2coo_kernelILj256ELj32EilEEvT2_PKT1_S4_PS1_21rocsparse_index_base_
; %bb.0:
	s_load_dwordx8 s[4:11], s[0:1], 0x0
	s_load_dword s12, s[0:1], 0x20
	v_lshrrev_b32_e32 v1, 5, v0
	v_mov_b32_e32 v2, 1
	v_mov_b32_e32 v6, 0
	s_lshl_b32 s2, s2, 3
	ds_write_b32 v6, v2 offset:32
	v_or_b32_e32 v2, s2, v1
	v_mov_b32_e32 v3, v6
	s_waitcnt lgkmcnt(0)
	v_cmp_gt_i64_e32 vcc, s[4:5], v[2:3]
	v_mov_b32_e32 v4, 0
	s_barrier
	s_and_saveexec_b64 s[0:1], vcc
	s_cbranch_execz .LBB20_2
; %bb.1:
	v_lshl_add_u64 v[4:5], v[2:3], 2, s[6:7]
	global_load_dword v4, v[4:5], off
	s_waitcnt vmcnt(0)
	v_subrev_u32_e32 v4, s12, v4
.LBB20_2:
	s_or_b64 exec, exec, s[0:1]
	s_and_saveexec_b64 s[0:1], vcc
	s_cbranch_execz .LBB20_4
; %bb.3:
	v_lshl_add_u64 v[6:7], v[2:3], 2, s[8:9]
	global_load_dword v5, v[6:7], off
	s_waitcnt vmcnt(0)
	v_subrev_u32_e32 v6, s12, v5
.LBB20_4:
	s_or_b64 exec, exec, s[0:1]
	v_sub_u32_e32 v5, v6, v4
	s_movk_i32 s0, 0x101
	v_cmp_gt_u32_e32 vcc, s0, v5
	s_movk_i32 s0, 0x100
	v_cmp_lt_u32_e64 s[0:1], s0, v5
	s_and_saveexec_b64 s[14:15], s[0:1]
	s_xor_b64 s[0:1], exec, s[14:15]
; %bb.5:
	v_mov_b32_e32 v2, 0
	ds_write_b32 v2, v2 offset:32
                                        ; implicit-def: $vgpr4
                                        ; implicit-def: $vgpr6
                                        ; implicit-def: $vgpr2_vgpr3
; %bb.6:
	s_andn2_saveexec_b64 s[14:15], s[0:1]
	s_cbranch_execz .LBB20_11
; %bb.7:
	v_and_b32_e32 v5, 31, v0
	v_add_u32_e32 v4, v4, v5
	v_cmp_lt_i32_e64 s[0:1], v4, v6
	s_and_saveexec_b64 s[16:17], s[0:1]
	s_cbranch_execz .LBB20_10
; %bb.8:
	s_mov_b32 s13, 0
	v_lshl_add_u64 v[2:3], v[2:3], 0, s[12:13]
	s_mov_b64 s[18:19], 0
.LBB20_9:                               ; =>This Inner Loop Header: Depth=1
	v_ashrrev_i32_e32 v5, 31, v4
	v_lshl_add_u64 v[8:9], v[4:5], 3, s[10:11]
	v_add_u32_e32 v4, 32, v4
	v_cmp_ge_i32_e64 s[0:1], v4, v6
	s_or_b64 s[18:19], s[0:1], s[18:19]
	global_store_dwordx2 v[8:9], v[2:3], off
	s_andn2_b64 exec, exec, s[18:19]
	s_cbranch_execnz .LBB20_9
.LBB20_10:
	s_or_b64 exec, exec, s[16:17]
.LBB20_11:
	s_or_b64 exec, exec, s[14:15]
	v_cndmask_b32_e64 v2, 0, 1, vcc
	v_lshlrev_b32_e32 v1, 2, v1
	ds_write_b32 v1, v2
	v_mov_b32_e32 v1, 0
	s_waitcnt lgkmcnt(0)
	s_barrier
	ds_read_b32 v2, v1 offset:32
	s_waitcnt lgkmcnt(0)
	v_cmp_ne_u32_e32 vcc, 0, v2
	s_cbranch_vccnz .LBB20_83
; %bb.12:
	ds_read_b32 v1, v1
	s_mov_b32 s3, 0
	s_waitcnt lgkmcnt(0)
	v_cmp_ne_u32_e32 vcc, 0, v1
	s_cbranch_vccnz .LBB20_21
; %bb.13:
	v_mov_b64_e32 v[2:3], s[2:3]
	v_cmp_le_i64_e32 vcc, s[4:5], v[2:3]
	v_cmp_gt_i64_e64 s[0:1], s[4:5], v[2:3]
	s_mov_b32 s13, 0
	s_mov_b32 s14, 0
	s_cbranch_vccz .LBB20_16
; %bb.14:
	s_andn2_b64 vcc, exec, s[0:1]
	s_cbranch_vccz .LBB20_17
.LBB20_15:
	v_add_u32_e32 v2, s14, v0
	v_cmp_gt_i32_e32 vcc, s13, v2
	s_and_saveexec_b64 s[0:1], vcc
	s_cbranch_execnz .LBB20_18
	s_branch .LBB20_20
.LBB20_16:
	s_lshl_b64 s[14:15], s[2:3], 2
	s_add_u32 s14, s6, s14
	s_addc_u32 s15, s7, s15
	s_load_dword s14, s[14:15], 0x0
	s_waitcnt lgkmcnt(0)
	s_sub_i32 s14, s14, s12
	s_andn2_b64 vcc, exec, s[0:1]
	s_cbranch_vccnz .LBB20_15
.LBB20_17:
	s_lshl_b64 s[0:1], s[2:3], 2
	s_add_u32 s0, s8, s0
	s_addc_u32 s1, s9, s1
	s_load_dword s0, s[0:1], 0x0
	s_waitcnt lgkmcnt(0)
	s_sub_i32 s13, s0, s12
	v_add_u32_e32 v2, s14, v0
	v_cmp_gt_i32_e32 vcc, s13, v2
	s_and_saveexec_b64 s[0:1], vcc
	s_cbranch_execz .LBB20_20
.LBB20_18:
	s_add_u32 s16, s2, s12
	s_addc_u32 s17, 0, 0
	s_mov_b64 s[14:15], 0
	v_mov_b64_e32 v[4:5], s[16:17]
.LBB20_19:                              ; =>This Inner Loop Header: Depth=1
	v_ashrrev_i32_e32 v3, 31, v2
	v_lshl_add_u64 v[6:7], v[2:3], 3, s[10:11]
	v_add_u32_e32 v2, 0x100, v2
	v_cmp_le_i32_e32 vcc, s13, v2
	s_or_b64 s[14:15], vcc, s[14:15]
	global_store_dwordx2 v[6:7], v[4:5], off
	s_andn2_b64 exec, exec, s[14:15]
	s_cbranch_execnz .LBB20_19
.LBB20_20:
	s_or_b64 exec, exec, s[0:1]
.LBB20_21:
	v_mov_b32_e32 v1, 0
	ds_read_b32 v2, v1 offset:4
	s_waitcnt lgkmcnt(0)
	v_cmp_ne_u32_e32 vcc, 0, v2
	s_cbranch_vccz .LBB20_23
; %bb.22:
	ds_read_b32 v1, v1 offset:8
	s_waitcnt lgkmcnt(0)
	v_cmp_ne_u32_e32 vcc, 0, v1
	s_cbranch_vccnz .LBB20_39
	s_branch .LBB20_31
.LBB20_23:
	s_or_b32 s14, s2, 1
	s_mov_b32 s15, s3
	v_mov_b64_e32 v[2:3], s[14:15]
	v_cmp_le_i64_e32 vcc, s[4:5], v[2:3]
	v_cmp_gt_i64_e64 s[0:1], s[4:5], v[2:3]
	s_cbranch_vccz .LBB20_26
; %bb.24:
	s_andn2_b64 vcc, exec, s[0:1]
	s_mov_b32 s13, 0
	s_cbranch_vccz .LBB20_27
.LBB20_25:
	v_add_u32_e32 v2, s15, v0
	v_cmp_gt_i32_e32 vcc, s13, v2
	s_and_saveexec_b64 s[0:1], vcc
	s_cbranch_execnz .LBB20_28
	s_branch .LBB20_30
.LBB20_26:
	s_lshl_b64 s[16:17], s[2:3], 2
	s_add_u32 s16, s6, s16
	s_addc_u32 s17, s7, s17
	s_load_dword s13, s[16:17], 0x4
	s_waitcnt lgkmcnt(0)
	s_sub_i32 s15, s13, s12
	s_andn2_b64 vcc, exec, s[0:1]
	s_mov_b32 s13, 0
	s_cbranch_vccnz .LBB20_25
.LBB20_27:
	s_lshl_b64 s[0:1], s[2:3], 2
	s_add_u32 s0, s8, s0
	s_addc_u32 s1, s9, s1
	s_load_dword s0, s[0:1], 0x4
	s_waitcnt lgkmcnt(0)
	s_sub_i32 s13, s0, s12
	v_add_u32_e32 v2, s15, v0
	v_cmp_gt_i32_e32 vcc, s13, v2
	s_and_saveexec_b64 s[0:1], vcc
	s_cbranch_execz .LBB20_30
.LBB20_28:
	s_add_u32 s16, s14, s12
	s_addc_u32 s17, 0, 0
	s_mov_b64 s[14:15], 0
	v_mov_b64_e32 v[4:5], s[16:17]
.LBB20_29:                              ; =>This Inner Loop Header: Depth=1
	v_ashrrev_i32_e32 v3, 31, v2
	v_lshl_add_u64 v[6:7], v[2:3], 3, s[10:11]
	v_add_u32_e32 v2, 0x100, v2
	v_cmp_le_i32_e32 vcc, s13, v2
	s_or_b64 s[14:15], vcc, s[14:15]
	global_store_dwordx2 v[6:7], v[4:5], off
	s_andn2_b64 exec, exec, s[14:15]
	s_cbranch_execnz .LBB20_29
.LBB20_30:
	s_or_b64 exec, exec, s[0:1]
	ds_read_b32 v1, v1 offset:8
	s_waitcnt lgkmcnt(0)
	v_cmp_ne_u32_e32 vcc, 0, v1
	s_cbranch_vccnz .LBB20_39
.LBB20_31:
	s_or_b32 s14, s2, 2
	s_mov_b32 s15, 0
	v_mov_b64_e32 v[2:3], s[14:15]
	v_cmp_le_i64_e32 vcc, s[4:5], v[2:3]
	v_cmp_gt_i64_e64 s[0:1], s[4:5], v[2:3]
	s_mov_b32 s13, s15
	s_cbranch_vccz .LBB20_34
; %bb.32:
	s_andn2_b64 vcc, exec, s[0:1]
	s_cbranch_vccz .LBB20_35
.LBB20_33:
	v_add_u32_e32 v2, s13, v0
	v_cmp_gt_i32_e32 vcc, s15, v2
	s_and_saveexec_b64 s[0:1], vcc
	s_cbranch_execnz .LBB20_36
	s_branch .LBB20_38
.LBB20_34:
	s_lshl_b64 s[16:17], s[2:3], 2
	s_add_u32 s16, s6, s16
	s_addc_u32 s17, s7, s17
	s_load_dword s13, s[16:17], 0x8
	s_waitcnt lgkmcnt(0)
	s_sub_i32 s13, s13, s12
	s_andn2_b64 vcc, exec, s[0:1]
	s_cbranch_vccnz .LBB20_33
.LBB20_35:
	s_lshl_b64 s[0:1], s[2:3], 2
	s_add_u32 s0, s8, s0
	s_addc_u32 s1, s9, s1
	s_load_dword s0, s[0:1], 0x8
	s_waitcnt lgkmcnt(0)
	s_sub_i32 s15, s0, s12
	v_add_u32_e32 v2, s13, v0
	v_cmp_gt_i32_e32 vcc, s15, v2
	s_and_saveexec_b64 s[0:1], vcc
	s_cbranch_execz .LBB20_38
.LBB20_36:
	s_add_u32 s18, s14, s12
	s_addc_u32 s19, 0, 0
	s_mov_b64 s[16:17], 0
	v_mov_b64_e32 v[4:5], s[18:19]
.LBB20_37:                              ; =>This Inner Loop Header: Depth=1
	v_ashrrev_i32_e32 v3, 31, v2
	v_lshl_add_u64 v[6:7], v[2:3], 3, s[10:11]
	v_add_u32_e32 v2, 0x100, v2
	v_cmp_le_i32_e32 vcc, s15, v2
	s_or_b64 s[16:17], vcc, s[16:17]
	global_store_dwordx2 v[6:7], v[4:5], off
	s_andn2_b64 exec, exec, s[16:17]
	s_cbranch_execnz .LBB20_37
.LBB20_38:
	s_or_b64 exec, exec, s[0:1]
.LBB20_39:
	v_mov_b32_e32 v1, 0
	ds_read_b32 v2, v1 offset:12
	s_mov_b32 s15, 0
	s_waitcnt lgkmcnt(0)
	v_cmp_ne_u32_e32 vcc, 0, v2
	s_cbranch_vccz .LBB20_41
; %bb.40:
	ds_read_b32 v1, v1 offset:16
	s_waitcnt lgkmcnt(0)
	v_cmp_ne_u32_e32 vcc, 0, v1
	s_cbranch_vccnz .LBB20_57
	s_branch .LBB20_49
.LBB20_41:
	s_or_b32 s14, s2, 3
	v_mov_b64_e32 v[2:3], s[14:15]
	v_cmp_le_i64_e32 vcc, s[4:5], v[2:3]
	v_cmp_gt_i64_e64 s[0:1], s[4:5], v[2:3]
	s_cbranch_vccz .LBB20_44
; %bb.42:
	s_andn2_b64 vcc, exec, s[0:1]
	s_mov_b32 s13, 0
	s_cbranch_vccz .LBB20_45
.LBB20_43:
	v_add_u32_e32 v2, s15, v0
	v_cmp_gt_i32_e32 vcc, s13, v2
	s_and_saveexec_b64 s[0:1], vcc
	s_cbranch_execnz .LBB20_46
	s_branch .LBB20_48
.LBB20_44:
	s_lshl_b64 s[16:17], s[2:3], 2
	s_add_u32 s16, s6, s16
	s_addc_u32 s17, s7, s17
	s_load_dword s13, s[16:17], 0xc
	s_waitcnt lgkmcnt(0)
	s_sub_i32 s15, s13, s12
	s_andn2_b64 vcc, exec, s[0:1]
	s_mov_b32 s13, 0
	s_cbranch_vccnz .LBB20_43
.LBB20_45:
	s_lshl_b64 s[0:1], s[2:3], 2
	s_add_u32 s0, s8, s0
	s_addc_u32 s1, s9, s1
	s_load_dword s0, s[0:1], 0xc
	s_waitcnt lgkmcnt(0)
	s_sub_i32 s13, s0, s12
	v_add_u32_e32 v2, s15, v0
	v_cmp_gt_i32_e32 vcc, s13, v2
	s_and_saveexec_b64 s[0:1], vcc
	s_cbranch_execz .LBB20_48
.LBB20_46:
	s_add_u32 s16, s14, s12
	s_addc_u32 s17, 0, 0
	s_mov_b64 s[14:15], 0
	v_mov_b64_e32 v[4:5], s[16:17]
.LBB20_47:                              ; =>This Inner Loop Header: Depth=1
	v_ashrrev_i32_e32 v3, 31, v2
	v_lshl_add_u64 v[6:7], v[2:3], 3, s[10:11]
	v_add_u32_e32 v2, 0x100, v2
	v_cmp_le_i32_e32 vcc, s13, v2
	s_or_b64 s[14:15], vcc, s[14:15]
	global_store_dwordx2 v[6:7], v[4:5], off
	s_andn2_b64 exec, exec, s[14:15]
	s_cbranch_execnz .LBB20_47
.LBB20_48:
	s_or_b64 exec, exec, s[0:1]
	ds_read_b32 v1, v1 offset:16
	s_waitcnt lgkmcnt(0)
	v_cmp_ne_u32_e32 vcc, 0, v1
	s_cbranch_vccnz .LBB20_57
.LBB20_49:
	s_or_b32 s14, s2, 4
	s_mov_b32 s15, 0
	v_mov_b64_e32 v[2:3], s[14:15]
	v_cmp_le_i64_e32 vcc, s[4:5], v[2:3]
	v_cmp_gt_i64_e64 s[0:1], s[4:5], v[2:3]
	s_mov_b32 s13, s15
	s_cbranch_vccz .LBB20_52
; %bb.50:
	s_andn2_b64 vcc, exec, s[0:1]
	s_cbranch_vccz .LBB20_53
.LBB20_51:
	v_add_u32_e32 v2, s13, v0
	v_cmp_gt_i32_e32 vcc, s15, v2
	s_and_saveexec_b64 s[0:1], vcc
	s_cbranch_execnz .LBB20_54
	s_branch .LBB20_56
.LBB20_52:
	s_lshl_b64 s[16:17], s[2:3], 2
	s_add_u32 s16, s6, s16
	s_addc_u32 s17, s7, s17
	s_load_dword s13, s[16:17], 0x10
	s_waitcnt lgkmcnt(0)
	s_sub_i32 s13, s13, s12
	s_andn2_b64 vcc, exec, s[0:1]
	s_cbranch_vccnz .LBB20_51
.LBB20_53:
	s_lshl_b64 s[0:1], s[2:3], 2
	s_add_u32 s0, s8, s0
	s_addc_u32 s1, s9, s1
	s_load_dword s0, s[0:1], 0x10
	s_waitcnt lgkmcnt(0)
	s_sub_i32 s15, s0, s12
	v_add_u32_e32 v2, s13, v0
	v_cmp_gt_i32_e32 vcc, s15, v2
	s_and_saveexec_b64 s[0:1], vcc
	s_cbranch_execz .LBB20_56
.LBB20_54:
	s_add_u32 s18, s14, s12
	s_addc_u32 s19, 0, 0
	s_mov_b64 s[16:17], 0
	v_mov_b64_e32 v[4:5], s[18:19]
.LBB20_55:                              ; =>This Inner Loop Header: Depth=1
	v_ashrrev_i32_e32 v3, 31, v2
	v_lshl_add_u64 v[6:7], v[2:3], 3, s[10:11]
	v_add_u32_e32 v2, 0x100, v2
	v_cmp_le_i32_e32 vcc, s15, v2
	s_or_b64 s[16:17], vcc, s[16:17]
	global_store_dwordx2 v[6:7], v[4:5], off
	s_andn2_b64 exec, exec, s[16:17]
	s_cbranch_execnz .LBB20_55
.LBB20_56:
	s_or_b64 exec, exec, s[0:1]
.LBB20_57:
	v_mov_b32_e32 v1, 0
	ds_read_b32 v2, v1 offset:20
	s_mov_b32 s15, 0
	s_waitcnt lgkmcnt(0)
	v_cmp_ne_u32_e32 vcc, 0, v2
	s_cbranch_vccz .LBB20_59
; %bb.58:
	ds_read_b32 v1, v1 offset:24
	s_waitcnt lgkmcnt(0)
	v_cmp_ne_u32_e32 vcc, 0, v1
	s_cbranch_vccnz .LBB20_75
	s_branch .LBB20_67
.LBB20_59:
	s_or_b32 s14, s2, 5
	v_mov_b64_e32 v[2:3], s[14:15]
	v_cmp_le_i64_e32 vcc, s[4:5], v[2:3]
	v_cmp_gt_i64_e64 s[0:1], s[4:5], v[2:3]
	s_cbranch_vccz .LBB20_62
; %bb.60:
	s_andn2_b64 vcc, exec, s[0:1]
	s_mov_b32 s13, 0
	s_cbranch_vccz .LBB20_63
.LBB20_61:
	v_add_u32_e32 v2, s15, v0
	v_cmp_gt_i32_e32 vcc, s13, v2
	s_and_saveexec_b64 s[0:1], vcc
	s_cbranch_execnz .LBB20_64
	s_branch .LBB20_66
.LBB20_62:
	s_lshl_b64 s[16:17], s[2:3], 2
	s_add_u32 s16, s6, s16
	s_addc_u32 s17, s7, s17
	s_load_dword s13, s[16:17], 0x14
	s_waitcnt lgkmcnt(0)
	s_sub_i32 s15, s13, s12
	s_andn2_b64 vcc, exec, s[0:1]
	s_mov_b32 s13, 0
	s_cbranch_vccnz .LBB20_61
.LBB20_63:
	s_lshl_b64 s[0:1], s[2:3], 2
	s_add_u32 s0, s8, s0
	s_addc_u32 s1, s9, s1
	s_load_dword s0, s[0:1], 0x14
	s_waitcnt lgkmcnt(0)
	s_sub_i32 s13, s0, s12
	v_add_u32_e32 v2, s15, v0
	v_cmp_gt_i32_e32 vcc, s13, v2
	s_and_saveexec_b64 s[0:1], vcc
	s_cbranch_execz .LBB20_66
.LBB20_64:
	s_add_u32 s16, s14, s12
	s_addc_u32 s17, 0, 0
	s_mov_b64 s[14:15], 0
	v_mov_b64_e32 v[4:5], s[16:17]
.LBB20_65:                              ; =>This Inner Loop Header: Depth=1
	v_ashrrev_i32_e32 v3, 31, v2
	v_lshl_add_u64 v[6:7], v[2:3], 3, s[10:11]
	v_add_u32_e32 v2, 0x100, v2
	v_cmp_le_i32_e32 vcc, s13, v2
	s_or_b64 s[14:15], vcc, s[14:15]
	global_store_dwordx2 v[6:7], v[4:5], off
	s_andn2_b64 exec, exec, s[14:15]
	s_cbranch_execnz .LBB20_65
.LBB20_66:
	s_or_b64 exec, exec, s[0:1]
	ds_read_b32 v1, v1 offset:24
	s_waitcnt lgkmcnt(0)
	v_cmp_ne_u32_e32 vcc, 0, v1
	s_cbranch_vccnz .LBB20_75
.LBB20_67:
	s_or_b32 s14, s2, 6
	s_mov_b32 s15, 0
	v_mov_b64_e32 v[2:3], s[14:15]
	v_cmp_le_i64_e32 vcc, s[4:5], v[2:3]
	v_cmp_gt_i64_e64 s[0:1], s[4:5], v[2:3]
	s_mov_b32 s13, s15
	s_cbranch_vccz .LBB20_70
; %bb.68:
	s_andn2_b64 vcc, exec, s[0:1]
	s_cbranch_vccz .LBB20_71
.LBB20_69:
	v_add_u32_e32 v2, s13, v0
	v_cmp_gt_i32_e32 vcc, s15, v2
	s_and_saveexec_b64 s[0:1], vcc
	s_cbranch_execnz .LBB20_72
	s_branch .LBB20_74
.LBB20_70:
	s_lshl_b64 s[16:17], s[2:3], 2
	s_add_u32 s16, s6, s16
	s_addc_u32 s17, s7, s17
	s_load_dword s13, s[16:17], 0x18
	s_waitcnt lgkmcnt(0)
	s_sub_i32 s13, s13, s12
	s_andn2_b64 vcc, exec, s[0:1]
	s_cbranch_vccnz .LBB20_69
.LBB20_71:
	s_lshl_b64 s[0:1], s[2:3], 2
	s_add_u32 s0, s8, s0
	s_addc_u32 s1, s9, s1
	s_load_dword s0, s[0:1], 0x18
	s_waitcnt lgkmcnt(0)
	s_sub_i32 s15, s0, s12
	v_add_u32_e32 v2, s13, v0
	v_cmp_gt_i32_e32 vcc, s15, v2
	s_and_saveexec_b64 s[0:1], vcc
	s_cbranch_execz .LBB20_74
.LBB20_72:
	s_add_u32 s18, s14, s12
	s_addc_u32 s19, 0, 0
	s_mov_b64 s[16:17], 0
	v_mov_b64_e32 v[4:5], s[18:19]
.LBB20_73:                              ; =>This Inner Loop Header: Depth=1
	v_ashrrev_i32_e32 v3, 31, v2
	v_lshl_add_u64 v[6:7], v[2:3], 3, s[10:11]
	v_add_u32_e32 v2, 0x100, v2
	v_cmp_le_i32_e32 vcc, s15, v2
	s_or_b64 s[16:17], vcc, s[16:17]
	global_store_dwordx2 v[6:7], v[4:5], off
	s_andn2_b64 exec, exec, s[16:17]
	s_cbranch_execnz .LBB20_73
.LBB20_74:
	s_or_b64 exec, exec, s[0:1]
.LBB20_75:
	v_mov_b32_e32 v1, 0
	ds_read_b32 v1, v1 offset:28
	s_mov_b32 s15, 0
	s_waitcnt lgkmcnt(0)
	v_cmp_ne_u32_e32 vcc, 0, v1
	s_cbranch_vccnz .LBB20_83
; %bb.76:
	s_or_b32 s14, s2, 7
	v_mov_b64_e32 v[2:3], s[14:15]
	v_cmp_le_i64_e32 vcc, s[4:5], v[2:3]
	v_cmp_gt_i64_e64 s[0:1], s[4:5], v[2:3]
	s_cbranch_vccz .LBB20_79
; %bb.77:
	s_andn2_b64 vcc, exec, s[0:1]
	s_mov_b32 s4, 0
	s_cbranch_vccz .LBB20_80
.LBB20_78:
	v_add_u32_e32 v0, s15, v0
	v_cmp_gt_i32_e32 vcc, s4, v0
	s_and_saveexec_b64 s[0:1], vcc
	s_cbranch_execnz .LBB20_81
	s_branch .LBB20_83
.LBB20_79:
	s_lshl_b64 s[4:5], s[2:3], 2
	s_add_u32 s4, s6, s4
	s_addc_u32 s5, s7, s5
	s_load_dword s4, s[4:5], 0x1c
	s_waitcnt lgkmcnt(0)
	s_sub_i32 s15, s4, s12
	s_andn2_b64 vcc, exec, s[0:1]
	s_mov_b32 s4, 0
	s_cbranch_vccnz .LBB20_78
.LBB20_80:
	s_lshl_b64 s[0:1], s[2:3], 2
	s_add_u32 s0, s8, s0
	s_addc_u32 s1, s9, s1
	s_load_dword s0, s[0:1], 0x1c
	s_waitcnt lgkmcnt(0)
	s_sub_i32 s4, s0, s12
	v_add_u32_e32 v0, s15, v0
	v_cmp_gt_i32_e32 vcc, s4, v0
	s_and_saveexec_b64 s[0:1], vcc
	s_cbranch_execz .LBB20_83
.LBB20_81:
	s_add_u32 s2, s14, s12
	s_addc_u32 s3, 0, 0
	s_mov_b64 s[0:1], 0
	v_mov_b64_e32 v[2:3], s[2:3]
.LBB20_82:                              ; =>This Inner Loop Header: Depth=1
	v_ashrrev_i32_e32 v1, 31, v0
	v_lshl_add_u64 v[4:5], v[0:1], 3, s[10:11]
	v_add_u32_e32 v0, 0x100, v0
	v_cmp_le_i32_e32 vcc, s4, v0
	s_or_b64 s[0:1], vcc, s[0:1]
	global_store_dwordx2 v[4:5], v[2:3], off
	s_andn2_b64 exec, exec, s[0:1]
	s_cbranch_execnz .LBB20_82
.LBB20_83:
	s_endpgm
	.section	.rodata,"a",@progbits
	.p2align	6, 0x0
	.amdhsa_kernel _ZN9rocsparseL14csr2coo_kernelILj256ELj32EilEEvT2_PKT1_S4_PS1_21rocsparse_index_base_
		.amdhsa_group_segment_fixed_size 36
		.amdhsa_private_segment_fixed_size 0
		.amdhsa_kernarg_size 36
		.amdhsa_user_sgpr_count 2
		.amdhsa_user_sgpr_dispatch_ptr 0
		.amdhsa_user_sgpr_queue_ptr 0
		.amdhsa_user_sgpr_kernarg_segment_ptr 1
		.amdhsa_user_sgpr_dispatch_id 0
		.amdhsa_user_sgpr_kernarg_preload_length 0
		.amdhsa_user_sgpr_kernarg_preload_offset 0
		.amdhsa_user_sgpr_private_segment_size 0
		.amdhsa_uses_dynamic_stack 0
		.amdhsa_enable_private_segment 0
		.amdhsa_system_sgpr_workgroup_id_x 1
		.amdhsa_system_sgpr_workgroup_id_y 0
		.amdhsa_system_sgpr_workgroup_id_z 0
		.amdhsa_system_sgpr_workgroup_info 0
		.amdhsa_system_vgpr_workitem_id 0
		.amdhsa_next_free_vgpr 10
		.amdhsa_next_free_sgpr 20
		.amdhsa_accum_offset 12
		.amdhsa_reserve_vcc 1
		.amdhsa_float_round_mode_32 0
		.amdhsa_float_round_mode_16_64 0
		.amdhsa_float_denorm_mode_32 3
		.amdhsa_float_denorm_mode_16_64 3
		.amdhsa_dx10_clamp 1
		.amdhsa_ieee_mode 1
		.amdhsa_fp16_overflow 0
		.amdhsa_tg_split 0
		.amdhsa_exception_fp_ieee_invalid_op 0
		.amdhsa_exception_fp_denorm_src 0
		.amdhsa_exception_fp_ieee_div_zero 0
		.amdhsa_exception_fp_ieee_overflow 0
		.amdhsa_exception_fp_ieee_underflow 0
		.amdhsa_exception_fp_ieee_inexact 0
		.amdhsa_exception_int_div_zero 0
	.end_amdhsa_kernel
	.section	.text._ZN9rocsparseL14csr2coo_kernelILj256ELj32EilEEvT2_PKT1_S4_PS1_21rocsparse_index_base_,"axG",@progbits,_ZN9rocsparseL14csr2coo_kernelILj256ELj32EilEEvT2_PKT1_S4_PS1_21rocsparse_index_base_,comdat
.Lfunc_end20:
	.size	_ZN9rocsparseL14csr2coo_kernelILj256ELj32EilEEvT2_PKT1_S4_PS1_21rocsparse_index_base_, .Lfunc_end20-_ZN9rocsparseL14csr2coo_kernelILj256ELj32EilEEvT2_PKT1_S4_PS1_21rocsparse_index_base_
                                        ; -- End function
	.set _ZN9rocsparseL14csr2coo_kernelILj256ELj32EilEEvT2_PKT1_S4_PS1_21rocsparse_index_base_.num_vgpr, 10
	.set _ZN9rocsparseL14csr2coo_kernelILj256ELj32EilEEvT2_PKT1_S4_PS1_21rocsparse_index_base_.num_agpr, 0
	.set _ZN9rocsparseL14csr2coo_kernelILj256ELj32EilEEvT2_PKT1_S4_PS1_21rocsparse_index_base_.numbered_sgpr, 20
	.set _ZN9rocsparseL14csr2coo_kernelILj256ELj32EilEEvT2_PKT1_S4_PS1_21rocsparse_index_base_.num_named_barrier, 0
	.set _ZN9rocsparseL14csr2coo_kernelILj256ELj32EilEEvT2_PKT1_S4_PS1_21rocsparse_index_base_.private_seg_size, 0
	.set _ZN9rocsparseL14csr2coo_kernelILj256ELj32EilEEvT2_PKT1_S4_PS1_21rocsparse_index_base_.uses_vcc, 1
	.set _ZN9rocsparseL14csr2coo_kernelILj256ELj32EilEEvT2_PKT1_S4_PS1_21rocsparse_index_base_.uses_flat_scratch, 0
	.set _ZN9rocsparseL14csr2coo_kernelILj256ELj32EilEEvT2_PKT1_S4_PS1_21rocsparse_index_base_.has_dyn_sized_stack, 0
	.set _ZN9rocsparseL14csr2coo_kernelILj256ELj32EilEEvT2_PKT1_S4_PS1_21rocsparse_index_base_.has_recursion, 0
	.set _ZN9rocsparseL14csr2coo_kernelILj256ELj32EilEEvT2_PKT1_S4_PS1_21rocsparse_index_base_.has_indirect_call, 0
	.section	.AMDGPU.csdata,"",@progbits
; Kernel info:
; codeLenInByte = 2228
; TotalNumSgprs: 26
; NumVgprs: 10
; NumAgprs: 0
; TotalNumVgprs: 10
; ScratchSize: 0
; MemoryBound: 0
; FloatMode: 240
; IeeeMode: 1
; LDSByteSize: 36 bytes/workgroup (compile time only)
; SGPRBlocks: 3
; VGPRBlocks: 1
; NumSGPRsForWavesPerEU: 26
; NumVGPRsForWavesPerEU: 10
; AccumOffset: 12
; Occupancy: 8
; WaveLimiterHint : 0
; COMPUTE_PGM_RSRC2:SCRATCH_EN: 0
; COMPUTE_PGM_RSRC2:USER_SGPR: 2
; COMPUTE_PGM_RSRC2:TRAP_HANDLER: 0
; COMPUTE_PGM_RSRC2:TGID_X_EN: 1
; COMPUTE_PGM_RSRC2:TGID_Y_EN: 0
; COMPUTE_PGM_RSRC2:TGID_Z_EN: 0
; COMPUTE_PGM_RSRC2:TIDIG_COMP_CNT: 0
; COMPUTE_PGM_RSRC3_GFX90A:ACCUM_OFFSET: 2
; COMPUTE_PGM_RSRC3_GFX90A:TG_SPLIT: 0
	.section	.text._ZN9rocsparseL14csr2coo_kernelILj256ELj64EilEEvT2_PKT1_S4_PS1_21rocsparse_index_base_,"axG",@progbits,_ZN9rocsparseL14csr2coo_kernelILj256ELj64EilEEvT2_PKT1_S4_PS1_21rocsparse_index_base_,comdat
	.globl	_ZN9rocsparseL14csr2coo_kernelILj256ELj64EilEEvT2_PKT1_S4_PS1_21rocsparse_index_base_ ; -- Begin function _ZN9rocsparseL14csr2coo_kernelILj256ELj64EilEEvT2_PKT1_S4_PS1_21rocsparse_index_base_
	.p2align	8
	.type	_ZN9rocsparseL14csr2coo_kernelILj256ELj64EilEEvT2_PKT1_S4_PS1_21rocsparse_index_base_,@function
_ZN9rocsparseL14csr2coo_kernelILj256ELj64EilEEvT2_PKT1_S4_PS1_21rocsparse_index_base_: ; @_ZN9rocsparseL14csr2coo_kernelILj256ELj64EilEEvT2_PKT1_S4_PS1_21rocsparse_index_base_
; %bb.0:
	s_load_dwordx8 s[4:11], s[0:1], 0x0
	s_load_dword s12, s[0:1], 0x20
	v_lshrrev_b32_e32 v1, 6, v0
	v_mov_b32_e32 v2, 1
	v_mov_b32_e32 v6, 0
	s_lshl_b32 s2, s2, 2
	ds_write_b32 v6, v2 offset:16
	v_or_b32_e32 v2, s2, v1
	v_mov_b32_e32 v3, v6
	s_waitcnt lgkmcnt(0)
	v_cmp_gt_i64_e32 vcc, s[4:5], v[2:3]
	v_mov_b32_e32 v4, 0
	s_barrier
	s_and_saveexec_b64 s[0:1], vcc
	s_cbranch_execz .LBB21_2
; %bb.1:
	v_lshl_add_u64 v[4:5], v[2:3], 2, s[6:7]
	global_load_dword v4, v[4:5], off
	s_waitcnt vmcnt(0)
	v_subrev_u32_e32 v4, s12, v4
.LBB21_2:
	s_or_b64 exec, exec, s[0:1]
	s_and_saveexec_b64 s[0:1], vcc
	s_cbranch_execz .LBB21_4
; %bb.3:
	v_lshl_add_u64 v[6:7], v[2:3], 2, s[8:9]
	global_load_dword v5, v[6:7], off
	s_waitcnt vmcnt(0)
	v_subrev_u32_e32 v6, s12, v5
.LBB21_4:
	s_or_b64 exec, exec, s[0:1]
	v_sub_u32_e32 v5, v6, v4
	s_movk_i32 s0, 0x201
	v_cmp_gt_u32_e32 vcc, s0, v5
	s_movk_i32 s0, 0x200
	v_cmp_lt_u32_e64 s[0:1], s0, v5
	s_and_saveexec_b64 s[14:15], s[0:1]
	s_xor_b64 s[0:1], exec, s[14:15]
; %bb.5:
	v_mov_b32_e32 v2, 0
	ds_write_b32 v2, v2 offset:16
                                        ; implicit-def: $vgpr4
                                        ; implicit-def: $vgpr6
                                        ; implicit-def: $vgpr2_vgpr3
; %bb.6:
	s_andn2_saveexec_b64 s[14:15], s[0:1]
	s_cbranch_execz .LBB21_11
; %bb.7:
	v_and_b32_e32 v5, 63, v0
	v_add_u32_e32 v4, v4, v5
	v_cmp_lt_i32_e64 s[0:1], v4, v6
	s_and_saveexec_b64 s[16:17], s[0:1]
	s_cbranch_execz .LBB21_10
; %bb.8:
	s_mov_b32 s13, 0
	v_lshl_add_u64 v[2:3], v[2:3], 0, s[12:13]
	s_mov_b64 s[18:19], 0
.LBB21_9:                               ; =>This Inner Loop Header: Depth=1
	v_ashrrev_i32_e32 v5, 31, v4
	v_lshl_add_u64 v[8:9], v[4:5], 3, s[10:11]
	v_add_u32_e32 v4, 64, v4
	v_cmp_ge_i32_e64 s[0:1], v4, v6
	s_or_b64 s[18:19], s[0:1], s[18:19]
	global_store_dwordx2 v[8:9], v[2:3], off
	s_andn2_b64 exec, exec, s[18:19]
	s_cbranch_execnz .LBB21_9
.LBB21_10:
	s_or_b64 exec, exec, s[16:17]
.LBB21_11:
	s_or_b64 exec, exec, s[14:15]
	v_cndmask_b32_e64 v2, 0, 1, vcc
	v_lshlrev_b32_e32 v1, 2, v1
	ds_write_b32 v1, v2
	v_mov_b32_e32 v1, 0
	s_waitcnt lgkmcnt(0)
	s_barrier
	ds_read_b32 v2, v1 offset:16
	s_waitcnt lgkmcnt(0)
	v_cmp_ne_u32_e32 vcc, 0, v2
	s_cbranch_vccnz .LBB21_47
; %bb.12:
	ds_read_b32 v1, v1
	s_mov_b32 s3, 0
	s_waitcnt lgkmcnt(0)
	v_cmp_ne_u32_e32 vcc, 0, v1
	s_cbranch_vccnz .LBB21_21
; %bb.13:
	v_mov_b64_e32 v[2:3], s[2:3]
	v_cmp_le_i64_e32 vcc, s[4:5], v[2:3]
	v_cmp_gt_i64_e64 s[0:1], s[4:5], v[2:3]
	s_mov_b32 s13, 0
	s_mov_b32 s14, 0
	s_cbranch_vccz .LBB21_16
; %bb.14:
	s_andn2_b64 vcc, exec, s[0:1]
	s_cbranch_vccz .LBB21_17
.LBB21_15:
	v_add_u32_e32 v2, s14, v0
	v_cmp_gt_i32_e32 vcc, s13, v2
	s_and_saveexec_b64 s[0:1], vcc
	s_cbranch_execnz .LBB21_18
	s_branch .LBB21_20
.LBB21_16:
	s_lshl_b64 s[14:15], s[2:3], 2
	s_add_u32 s14, s6, s14
	s_addc_u32 s15, s7, s15
	s_load_dword s14, s[14:15], 0x0
	s_waitcnt lgkmcnt(0)
	s_sub_i32 s14, s14, s12
	s_andn2_b64 vcc, exec, s[0:1]
	s_cbranch_vccnz .LBB21_15
.LBB21_17:
	s_lshl_b64 s[0:1], s[2:3], 2
	s_add_u32 s0, s8, s0
	s_addc_u32 s1, s9, s1
	s_load_dword s0, s[0:1], 0x0
	s_waitcnt lgkmcnt(0)
	s_sub_i32 s13, s0, s12
	v_add_u32_e32 v2, s14, v0
	v_cmp_gt_i32_e32 vcc, s13, v2
	s_and_saveexec_b64 s[0:1], vcc
	s_cbranch_execz .LBB21_20
.LBB21_18:
	s_add_u32 s16, s2, s12
	s_addc_u32 s17, 0, 0
	s_mov_b64 s[14:15], 0
	v_mov_b64_e32 v[4:5], s[16:17]
.LBB21_19:                              ; =>This Inner Loop Header: Depth=1
	v_ashrrev_i32_e32 v3, 31, v2
	v_lshl_add_u64 v[6:7], v[2:3], 3, s[10:11]
	v_add_u32_e32 v2, 0x100, v2
	v_cmp_le_i32_e32 vcc, s13, v2
	s_or_b64 s[14:15], vcc, s[14:15]
	global_store_dwordx2 v[6:7], v[4:5], off
	s_andn2_b64 exec, exec, s[14:15]
	s_cbranch_execnz .LBB21_19
.LBB21_20:
	s_or_b64 exec, exec, s[0:1]
.LBB21_21:
	v_mov_b32_e32 v1, 0
	ds_read_b32 v2, v1 offset:4
	s_waitcnt lgkmcnt(0)
	v_cmp_ne_u32_e32 vcc, 0, v2
	s_cbranch_vccz .LBB21_23
; %bb.22:
	ds_read_b32 v1, v1 offset:8
	s_waitcnt lgkmcnt(0)
	v_cmp_ne_u32_e32 vcc, 0, v1
	s_cbranch_vccnz .LBB21_39
	s_branch .LBB21_31
.LBB21_23:
	s_or_b32 s14, s2, 1
	s_mov_b32 s15, s3
	v_mov_b64_e32 v[2:3], s[14:15]
	v_cmp_le_i64_e32 vcc, s[4:5], v[2:3]
	v_cmp_gt_i64_e64 s[0:1], s[4:5], v[2:3]
	s_cbranch_vccz .LBB21_26
; %bb.24:
	s_andn2_b64 vcc, exec, s[0:1]
	s_mov_b32 s13, 0
	s_cbranch_vccz .LBB21_27
.LBB21_25:
	v_add_u32_e32 v2, s15, v0
	v_cmp_gt_i32_e32 vcc, s13, v2
	s_and_saveexec_b64 s[0:1], vcc
	s_cbranch_execnz .LBB21_28
	s_branch .LBB21_30
.LBB21_26:
	s_lshl_b64 s[16:17], s[2:3], 2
	s_add_u32 s16, s6, s16
	s_addc_u32 s17, s7, s17
	s_load_dword s13, s[16:17], 0x4
	s_waitcnt lgkmcnt(0)
	s_sub_i32 s15, s13, s12
	s_andn2_b64 vcc, exec, s[0:1]
	s_mov_b32 s13, 0
	s_cbranch_vccnz .LBB21_25
.LBB21_27:
	s_lshl_b64 s[0:1], s[2:3], 2
	s_add_u32 s0, s8, s0
	s_addc_u32 s1, s9, s1
	s_load_dword s0, s[0:1], 0x4
	s_waitcnt lgkmcnt(0)
	s_sub_i32 s13, s0, s12
	v_add_u32_e32 v2, s15, v0
	v_cmp_gt_i32_e32 vcc, s13, v2
	s_and_saveexec_b64 s[0:1], vcc
	s_cbranch_execz .LBB21_30
.LBB21_28:
	s_add_u32 s16, s14, s12
	s_addc_u32 s17, 0, 0
	s_mov_b64 s[14:15], 0
	v_mov_b64_e32 v[4:5], s[16:17]
.LBB21_29:                              ; =>This Inner Loop Header: Depth=1
	v_ashrrev_i32_e32 v3, 31, v2
	v_lshl_add_u64 v[6:7], v[2:3], 3, s[10:11]
	v_add_u32_e32 v2, 0x100, v2
	v_cmp_le_i32_e32 vcc, s13, v2
	s_or_b64 s[14:15], vcc, s[14:15]
	global_store_dwordx2 v[6:7], v[4:5], off
	s_andn2_b64 exec, exec, s[14:15]
	s_cbranch_execnz .LBB21_29
.LBB21_30:
	s_or_b64 exec, exec, s[0:1]
	ds_read_b32 v1, v1 offset:8
	s_waitcnt lgkmcnt(0)
	v_cmp_ne_u32_e32 vcc, 0, v1
	s_cbranch_vccnz .LBB21_39
.LBB21_31:
	s_or_b32 s14, s2, 2
	s_mov_b32 s15, 0
	v_mov_b64_e32 v[2:3], s[14:15]
	v_cmp_le_i64_e32 vcc, s[4:5], v[2:3]
	v_cmp_gt_i64_e64 s[0:1], s[4:5], v[2:3]
	s_mov_b32 s13, s15
	s_cbranch_vccz .LBB21_34
; %bb.32:
	s_andn2_b64 vcc, exec, s[0:1]
	s_cbranch_vccz .LBB21_35
.LBB21_33:
	v_add_u32_e32 v2, s13, v0
	v_cmp_gt_i32_e32 vcc, s15, v2
	s_and_saveexec_b64 s[0:1], vcc
	s_cbranch_execnz .LBB21_36
	s_branch .LBB21_38
.LBB21_34:
	s_lshl_b64 s[16:17], s[2:3], 2
	s_add_u32 s16, s6, s16
	s_addc_u32 s17, s7, s17
	s_load_dword s13, s[16:17], 0x8
	s_waitcnt lgkmcnt(0)
	s_sub_i32 s13, s13, s12
	s_andn2_b64 vcc, exec, s[0:1]
	s_cbranch_vccnz .LBB21_33
.LBB21_35:
	s_lshl_b64 s[0:1], s[2:3], 2
	s_add_u32 s0, s8, s0
	s_addc_u32 s1, s9, s1
	s_load_dword s0, s[0:1], 0x8
	s_waitcnt lgkmcnt(0)
	s_sub_i32 s15, s0, s12
	v_add_u32_e32 v2, s13, v0
	v_cmp_gt_i32_e32 vcc, s15, v2
	s_and_saveexec_b64 s[0:1], vcc
	s_cbranch_execz .LBB21_38
.LBB21_36:
	s_add_u32 s18, s14, s12
	s_addc_u32 s19, 0, 0
	s_mov_b64 s[16:17], 0
	v_mov_b64_e32 v[4:5], s[18:19]
.LBB21_37:                              ; =>This Inner Loop Header: Depth=1
	v_ashrrev_i32_e32 v3, 31, v2
	v_lshl_add_u64 v[6:7], v[2:3], 3, s[10:11]
	v_add_u32_e32 v2, 0x100, v2
	v_cmp_le_i32_e32 vcc, s15, v2
	s_or_b64 s[16:17], vcc, s[16:17]
	global_store_dwordx2 v[6:7], v[4:5], off
	s_andn2_b64 exec, exec, s[16:17]
	s_cbranch_execnz .LBB21_37
.LBB21_38:
	s_or_b64 exec, exec, s[0:1]
.LBB21_39:
	v_mov_b32_e32 v1, 0
	ds_read_b32 v1, v1 offset:12
	s_mov_b32 s15, 0
	s_waitcnt lgkmcnt(0)
	v_cmp_ne_u32_e32 vcc, 0, v1
	s_cbranch_vccnz .LBB21_47
; %bb.40:
	s_or_b32 s14, s2, 3
	v_mov_b64_e32 v[2:3], s[14:15]
	v_cmp_le_i64_e32 vcc, s[4:5], v[2:3]
	v_cmp_gt_i64_e64 s[0:1], s[4:5], v[2:3]
	s_cbranch_vccz .LBB21_43
; %bb.41:
	s_andn2_b64 vcc, exec, s[0:1]
	s_mov_b32 s4, 0
	s_cbranch_vccz .LBB21_44
.LBB21_42:
	v_add_u32_e32 v0, s15, v0
	v_cmp_gt_i32_e32 vcc, s4, v0
	s_and_saveexec_b64 s[0:1], vcc
	s_cbranch_execnz .LBB21_45
	s_branch .LBB21_47
.LBB21_43:
	s_lshl_b64 s[4:5], s[2:3], 2
	s_add_u32 s4, s6, s4
	s_addc_u32 s5, s7, s5
	s_load_dword s4, s[4:5], 0xc
	s_waitcnt lgkmcnt(0)
	s_sub_i32 s15, s4, s12
	s_andn2_b64 vcc, exec, s[0:1]
	s_mov_b32 s4, 0
	s_cbranch_vccnz .LBB21_42
.LBB21_44:
	s_lshl_b64 s[0:1], s[2:3], 2
	s_add_u32 s0, s8, s0
	s_addc_u32 s1, s9, s1
	s_load_dword s0, s[0:1], 0xc
	s_waitcnt lgkmcnt(0)
	s_sub_i32 s4, s0, s12
	v_add_u32_e32 v0, s15, v0
	v_cmp_gt_i32_e32 vcc, s4, v0
	s_and_saveexec_b64 s[0:1], vcc
	s_cbranch_execz .LBB21_47
.LBB21_45:
	s_add_u32 s2, s14, s12
	s_addc_u32 s3, 0, 0
	s_mov_b64 s[0:1], 0
	v_mov_b64_e32 v[2:3], s[2:3]
.LBB21_46:                              ; =>This Inner Loop Header: Depth=1
	v_ashrrev_i32_e32 v1, 31, v0
	v_lshl_add_u64 v[4:5], v[0:1], 3, s[10:11]
	v_add_u32_e32 v0, 0x100, v0
	v_cmp_le_i32_e32 vcc, s4, v0
	s_or_b64 s[0:1], vcc, s[0:1]
	global_store_dwordx2 v[4:5], v[2:3], off
	s_andn2_b64 exec, exec, s[0:1]
	s_cbranch_execnz .LBB21_46
.LBB21_47:
	s_endpgm
	.section	.rodata,"a",@progbits
	.p2align	6, 0x0
	.amdhsa_kernel _ZN9rocsparseL14csr2coo_kernelILj256ELj64EilEEvT2_PKT1_S4_PS1_21rocsparse_index_base_
		.amdhsa_group_segment_fixed_size 20
		.amdhsa_private_segment_fixed_size 0
		.amdhsa_kernarg_size 36
		.amdhsa_user_sgpr_count 2
		.amdhsa_user_sgpr_dispatch_ptr 0
		.amdhsa_user_sgpr_queue_ptr 0
		.amdhsa_user_sgpr_kernarg_segment_ptr 1
		.amdhsa_user_sgpr_dispatch_id 0
		.amdhsa_user_sgpr_kernarg_preload_length 0
		.amdhsa_user_sgpr_kernarg_preload_offset 0
		.amdhsa_user_sgpr_private_segment_size 0
		.amdhsa_uses_dynamic_stack 0
		.amdhsa_enable_private_segment 0
		.amdhsa_system_sgpr_workgroup_id_x 1
		.amdhsa_system_sgpr_workgroup_id_y 0
		.amdhsa_system_sgpr_workgroup_id_z 0
		.amdhsa_system_sgpr_workgroup_info 0
		.amdhsa_system_vgpr_workitem_id 0
		.amdhsa_next_free_vgpr 10
		.amdhsa_next_free_sgpr 20
		.amdhsa_accum_offset 12
		.amdhsa_reserve_vcc 1
		.amdhsa_float_round_mode_32 0
		.amdhsa_float_round_mode_16_64 0
		.amdhsa_float_denorm_mode_32 3
		.amdhsa_float_denorm_mode_16_64 3
		.amdhsa_dx10_clamp 1
		.amdhsa_ieee_mode 1
		.amdhsa_fp16_overflow 0
		.amdhsa_tg_split 0
		.amdhsa_exception_fp_ieee_invalid_op 0
		.amdhsa_exception_fp_denorm_src 0
		.amdhsa_exception_fp_ieee_div_zero 0
		.amdhsa_exception_fp_ieee_overflow 0
		.amdhsa_exception_fp_ieee_underflow 0
		.amdhsa_exception_fp_ieee_inexact 0
		.amdhsa_exception_int_div_zero 0
	.end_amdhsa_kernel
	.section	.text._ZN9rocsparseL14csr2coo_kernelILj256ELj64EilEEvT2_PKT1_S4_PS1_21rocsparse_index_base_,"axG",@progbits,_ZN9rocsparseL14csr2coo_kernelILj256ELj64EilEEvT2_PKT1_S4_PS1_21rocsparse_index_base_,comdat
.Lfunc_end21:
	.size	_ZN9rocsparseL14csr2coo_kernelILj256ELj64EilEEvT2_PKT1_S4_PS1_21rocsparse_index_base_, .Lfunc_end21-_ZN9rocsparseL14csr2coo_kernelILj256ELj64EilEEvT2_PKT1_S4_PS1_21rocsparse_index_base_
                                        ; -- End function
	.set _ZN9rocsparseL14csr2coo_kernelILj256ELj64EilEEvT2_PKT1_S4_PS1_21rocsparse_index_base_.num_vgpr, 10
	.set _ZN9rocsparseL14csr2coo_kernelILj256ELj64EilEEvT2_PKT1_S4_PS1_21rocsparse_index_base_.num_agpr, 0
	.set _ZN9rocsparseL14csr2coo_kernelILj256ELj64EilEEvT2_PKT1_S4_PS1_21rocsparse_index_base_.numbered_sgpr, 20
	.set _ZN9rocsparseL14csr2coo_kernelILj256ELj64EilEEvT2_PKT1_S4_PS1_21rocsparse_index_base_.num_named_barrier, 0
	.set _ZN9rocsparseL14csr2coo_kernelILj256ELj64EilEEvT2_PKT1_S4_PS1_21rocsparse_index_base_.private_seg_size, 0
	.set _ZN9rocsparseL14csr2coo_kernelILj256ELj64EilEEvT2_PKT1_S4_PS1_21rocsparse_index_base_.uses_vcc, 1
	.set _ZN9rocsparseL14csr2coo_kernelILj256ELj64EilEEvT2_PKT1_S4_PS1_21rocsparse_index_base_.uses_flat_scratch, 0
	.set _ZN9rocsparseL14csr2coo_kernelILj256ELj64EilEEvT2_PKT1_S4_PS1_21rocsparse_index_base_.has_dyn_sized_stack, 0
	.set _ZN9rocsparseL14csr2coo_kernelILj256ELj64EilEEvT2_PKT1_S4_PS1_21rocsparse_index_base_.has_recursion, 0
	.set _ZN9rocsparseL14csr2coo_kernelILj256ELj64EilEEvT2_PKT1_S4_PS1_21rocsparse_index_base_.has_indirect_call, 0
	.section	.AMDGPU.csdata,"",@progbits
; Kernel info:
; codeLenInByte = 1268
; TotalNumSgprs: 26
; NumVgprs: 10
; NumAgprs: 0
; TotalNumVgprs: 10
; ScratchSize: 0
; MemoryBound: 0
; FloatMode: 240
; IeeeMode: 1
; LDSByteSize: 20 bytes/workgroup (compile time only)
; SGPRBlocks: 3
; VGPRBlocks: 1
; NumSGPRsForWavesPerEU: 26
; NumVGPRsForWavesPerEU: 10
; AccumOffset: 12
; Occupancy: 8
; WaveLimiterHint : 0
; COMPUTE_PGM_RSRC2:SCRATCH_EN: 0
; COMPUTE_PGM_RSRC2:USER_SGPR: 2
; COMPUTE_PGM_RSRC2:TRAP_HANDLER: 0
; COMPUTE_PGM_RSRC2:TGID_X_EN: 1
; COMPUTE_PGM_RSRC2:TGID_Y_EN: 0
; COMPUTE_PGM_RSRC2:TGID_Z_EN: 0
; COMPUTE_PGM_RSRC2:TIDIG_COMP_CNT: 0
; COMPUTE_PGM_RSRC3_GFX90A:ACCUM_OFFSET: 2
; COMPUTE_PGM_RSRC3_GFX90A:TG_SPLIT: 0
	.section	.text._ZN9rocsparseL14csr2coo_kernelILj256ELj128EilEEvT2_PKT1_S4_PS1_21rocsparse_index_base_,"axG",@progbits,_ZN9rocsparseL14csr2coo_kernelILj256ELj128EilEEvT2_PKT1_S4_PS1_21rocsparse_index_base_,comdat
	.globl	_ZN9rocsparseL14csr2coo_kernelILj256ELj128EilEEvT2_PKT1_S4_PS1_21rocsparse_index_base_ ; -- Begin function _ZN9rocsparseL14csr2coo_kernelILj256ELj128EilEEvT2_PKT1_S4_PS1_21rocsparse_index_base_
	.p2align	8
	.type	_ZN9rocsparseL14csr2coo_kernelILj256ELj128EilEEvT2_PKT1_S4_PS1_21rocsparse_index_base_,@function
_ZN9rocsparseL14csr2coo_kernelILj256ELj128EilEEvT2_PKT1_S4_PS1_21rocsparse_index_base_: ; @_ZN9rocsparseL14csr2coo_kernelILj256ELj128EilEEvT2_PKT1_S4_PS1_21rocsparse_index_base_
; %bb.0:
	s_load_dwordx8 s[4:11], s[0:1], 0x0
	s_load_dword s12, s[0:1], 0x20
	v_lshrrev_b32_e32 v1, 7, v0
	v_mov_b32_e32 v2, 1
	v_mov_b32_e32 v6, 0
	s_lshl_b32 s2, s2, 1
	ds_write_b32 v6, v2 offset:8
	v_or_b32_e32 v2, s2, v1
	v_mov_b32_e32 v3, v6
	s_waitcnt lgkmcnt(0)
	v_cmp_gt_i64_e32 vcc, s[4:5], v[2:3]
	v_mov_b32_e32 v4, 0
	s_barrier
	s_and_saveexec_b64 s[0:1], vcc
	s_cbranch_execz .LBB22_2
; %bb.1:
	v_lshl_add_u64 v[4:5], v[2:3], 2, s[6:7]
	global_load_dword v4, v[4:5], off
	s_waitcnt vmcnt(0)
	v_subrev_u32_e32 v4, s12, v4
.LBB22_2:
	s_or_b64 exec, exec, s[0:1]
	s_and_saveexec_b64 s[0:1], vcc
	s_cbranch_execz .LBB22_4
; %bb.3:
	v_lshl_add_u64 v[6:7], v[2:3], 2, s[8:9]
	global_load_dword v5, v[6:7], off
	s_waitcnt vmcnt(0)
	v_subrev_u32_e32 v6, s12, v5
.LBB22_4:
	s_or_b64 exec, exec, s[0:1]
	v_sub_u32_e32 v5, v6, v4
	s_movk_i32 s0, 0x401
	v_cmp_gt_u32_e32 vcc, s0, v5
	s_movk_i32 s0, 0x400
	v_cmp_lt_u32_e64 s[0:1], s0, v5
	s_and_saveexec_b64 s[14:15], s[0:1]
	s_xor_b64 s[0:1], exec, s[14:15]
; %bb.5:
	v_mov_b32_e32 v2, 0
	ds_write_b32 v2, v2 offset:8
                                        ; implicit-def: $vgpr4
                                        ; implicit-def: $vgpr6
                                        ; implicit-def: $vgpr2_vgpr3
; %bb.6:
	s_andn2_saveexec_b64 s[14:15], s[0:1]
	s_cbranch_execz .LBB22_11
; %bb.7:
	v_and_b32_e32 v5, 0x7f, v0
	v_add_u32_e32 v4, v4, v5
	v_cmp_lt_i32_e64 s[0:1], v4, v6
	s_and_saveexec_b64 s[16:17], s[0:1]
	s_cbranch_execz .LBB22_10
; %bb.8:
	s_mov_b32 s13, 0
	v_lshl_add_u64 v[2:3], v[2:3], 0, s[12:13]
	s_mov_b64 s[18:19], 0
.LBB22_9:                               ; =>This Inner Loop Header: Depth=1
	v_ashrrev_i32_e32 v5, 31, v4
	v_lshl_add_u64 v[8:9], v[4:5], 3, s[10:11]
	v_add_u32_e32 v4, 0x80, v4
	v_cmp_ge_i32_e64 s[0:1], v4, v6
	s_or_b64 s[18:19], s[0:1], s[18:19]
	global_store_dwordx2 v[8:9], v[2:3], off
	s_andn2_b64 exec, exec, s[18:19]
	s_cbranch_execnz .LBB22_9
.LBB22_10:
	s_or_b64 exec, exec, s[16:17]
.LBB22_11:
	s_or_b64 exec, exec, s[14:15]
	v_cndmask_b32_e64 v2, 0, 1, vcc
	v_lshlrev_b32_e32 v1, 2, v1
	ds_write_b32 v1, v2
	v_mov_b32_e32 v1, 0
	s_waitcnt lgkmcnt(0)
	s_barrier
	ds_read_b32 v2, v1 offset:8
	s_waitcnt lgkmcnt(0)
	v_cmp_ne_u32_e32 vcc, 0, v2
	s_cbranch_vccnz .LBB22_29
; %bb.12:
	ds_read_b32 v1, v1
	s_mov_b32 s3, 0
	s_waitcnt lgkmcnt(0)
	v_cmp_ne_u32_e32 vcc, 0, v1
	s_cbranch_vccnz .LBB22_21
; %bb.13:
	v_mov_b64_e32 v[2:3], s[2:3]
	v_cmp_le_i64_e32 vcc, s[4:5], v[2:3]
	v_cmp_gt_i64_e64 s[0:1], s[4:5], v[2:3]
	s_mov_b32 s13, 0
	s_mov_b32 s14, 0
	s_cbranch_vccz .LBB22_16
; %bb.14:
	s_andn2_b64 vcc, exec, s[0:1]
	s_cbranch_vccz .LBB22_17
.LBB22_15:
	v_add_u32_e32 v2, s14, v0
	v_cmp_gt_i32_e32 vcc, s13, v2
	s_and_saveexec_b64 s[0:1], vcc
	s_cbranch_execnz .LBB22_18
	s_branch .LBB22_20
.LBB22_16:
	s_lshl_b64 s[14:15], s[2:3], 2
	s_add_u32 s14, s6, s14
	s_addc_u32 s15, s7, s15
	s_load_dword s14, s[14:15], 0x0
	s_waitcnt lgkmcnt(0)
	s_sub_i32 s14, s14, s12
	s_andn2_b64 vcc, exec, s[0:1]
	s_cbranch_vccnz .LBB22_15
.LBB22_17:
	s_lshl_b64 s[0:1], s[2:3], 2
	s_add_u32 s0, s8, s0
	s_addc_u32 s1, s9, s1
	s_load_dword s0, s[0:1], 0x0
	s_waitcnt lgkmcnt(0)
	s_sub_i32 s13, s0, s12
	v_add_u32_e32 v2, s14, v0
	v_cmp_gt_i32_e32 vcc, s13, v2
	s_and_saveexec_b64 s[0:1], vcc
	s_cbranch_execz .LBB22_20
.LBB22_18:
	s_add_u32 s16, s2, s12
	s_addc_u32 s17, 0, 0
	s_mov_b64 s[14:15], 0
	v_mov_b64_e32 v[4:5], s[16:17]
.LBB22_19:                              ; =>This Inner Loop Header: Depth=1
	v_ashrrev_i32_e32 v3, 31, v2
	v_lshl_add_u64 v[6:7], v[2:3], 3, s[10:11]
	v_add_u32_e32 v2, 0x100, v2
	v_cmp_le_i32_e32 vcc, s13, v2
	s_or_b64 s[14:15], vcc, s[14:15]
	global_store_dwordx2 v[6:7], v[4:5], off
	s_andn2_b64 exec, exec, s[14:15]
	s_cbranch_execnz .LBB22_19
.LBB22_20:
	s_or_b64 exec, exec, s[0:1]
.LBB22_21:
	v_mov_b32_e32 v1, 0
	ds_read_b32 v1, v1 offset:4
	s_waitcnt lgkmcnt(0)
	v_cmp_ne_u32_e32 vcc, 0, v1
	s_cbranch_vccnz .LBB22_29
; %bb.22:
	s_or_b32 s14, s2, 1
	s_mov_b32 s15, s3
	v_mov_b64_e32 v[2:3], s[14:15]
	v_cmp_le_i64_e32 vcc, s[4:5], v[2:3]
	v_cmp_gt_i64_e64 s[0:1], s[4:5], v[2:3]
	s_mov_b32 s5, s3
	s_cbranch_vccz .LBB22_25
; %bb.23:
	s_andn2_b64 vcc, exec, s[0:1]
	s_mov_b32 s4, 0
	s_cbranch_vccz .LBB22_26
.LBB22_24:
	v_add_u32_e32 v0, s5, v0
	v_cmp_gt_i32_e32 vcc, s4, v0
	s_and_saveexec_b64 s[0:1], vcc
	s_cbranch_execnz .LBB22_27
	s_branch .LBB22_29
.LBB22_25:
	s_lshl_b64 s[4:5], s[2:3], 2
	s_add_u32 s4, s6, s4
	s_addc_u32 s5, s7, s5
	s_load_dword s4, s[4:5], 0x4
	s_waitcnt lgkmcnt(0)
	s_sub_i32 s5, s4, s12
	s_andn2_b64 vcc, exec, s[0:1]
	s_mov_b32 s4, 0
	s_cbranch_vccnz .LBB22_24
.LBB22_26:
	s_lshl_b64 s[0:1], s[2:3], 2
	s_add_u32 s0, s8, s0
	s_addc_u32 s1, s9, s1
	s_load_dword s0, s[0:1], 0x4
	s_waitcnt lgkmcnt(0)
	s_sub_i32 s4, s0, s12
	v_add_u32_e32 v0, s5, v0
	v_cmp_gt_i32_e32 vcc, s4, v0
	s_and_saveexec_b64 s[0:1], vcc
	s_cbranch_execz .LBB22_29
.LBB22_27:
	s_add_u32 s2, s14, s12
	s_addc_u32 s3, 0, 0
	s_mov_b64 s[0:1], 0
	v_mov_b64_e32 v[2:3], s[2:3]
.LBB22_28:                              ; =>This Inner Loop Header: Depth=1
	v_ashrrev_i32_e32 v1, 31, v0
	v_lshl_add_u64 v[4:5], v[0:1], 3, s[10:11]
	v_add_u32_e32 v0, 0x100, v0
	v_cmp_le_i32_e32 vcc, s4, v0
	s_or_b64 s[0:1], vcc, s[0:1]
	global_store_dwordx2 v[4:5], v[2:3], off
	s_andn2_b64 exec, exec, s[0:1]
	s_cbranch_execnz .LBB22_28
.LBB22_29:
	s_endpgm
	.section	.rodata,"a",@progbits
	.p2align	6, 0x0
	.amdhsa_kernel _ZN9rocsparseL14csr2coo_kernelILj256ELj128EilEEvT2_PKT1_S4_PS1_21rocsparse_index_base_
		.amdhsa_group_segment_fixed_size 12
		.amdhsa_private_segment_fixed_size 0
		.amdhsa_kernarg_size 36
		.amdhsa_user_sgpr_count 2
		.amdhsa_user_sgpr_dispatch_ptr 0
		.amdhsa_user_sgpr_queue_ptr 0
		.amdhsa_user_sgpr_kernarg_segment_ptr 1
		.amdhsa_user_sgpr_dispatch_id 0
		.amdhsa_user_sgpr_kernarg_preload_length 0
		.amdhsa_user_sgpr_kernarg_preload_offset 0
		.amdhsa_user_sgpr_private_segment_size 0
		.amdhsa_uses_dynamic_stack 0
		.amdhsa_enable_private_segment 0
		.amdhsa_system_sgpr_workgroup_id_x 1
		.amdhsa_system_sgpr_workgroup_id_y 0
		.amdhsa_system_sgpr_workgroup_id_z 0
		.amdhsa_system_sgpr_workgroup_info 0
		.amdhsa_system_vgpr_workitem_id 0
		.amdhsa_next_free_vgpr 10
		.amdhsa_next_free_sgpr 20
		.amdhsa_accum_offset 12
		.amdhsa_reserve_vcc 1
		.amdhsa_float_round_mode_32 0
		.amdhsa_float_round_mode_16_64 0
		.amdhsa_float_denorm_mode_32 3
		.amdhsa_float_denorm_mode_16_64 3
		.amdhsa_dx10_clamp 1
		.amdhsa_ieee_mode 1
		.amdhsa_fp16_overflow 0
		.amdhsa_tg_split 0
		.amdhsa_exception_fp_ieee_invalid_op 0
		.amdhsa_exception_fp_denorm_src 0
		.amdhsa_exception_fp_ieee_div_zero 0
		.amdhsa_exception_fp_ieee_overflow 0
		.amdhsa_exception_fp_ieee_underflow 0
		.amdhsa_exception_fp_ieee_inexact 0
		.amdhsa_exception_int_div_zero 0
	.end_amdhsa_kernel
	.section	.text._ZN9rocsparseL14csr2coo_kernelILj256ELj128EilEEvT2_PKT1_S4_PS1_21rocsparse_index_base_,"axG",@progbits,_ZN9rocsparseL14csr2coo_kernelILj256ELj128EilEEvT2_PKT1_S4_PS1_21rocsparse_index_base_,comdat
.Lfunc_end22:
	.size	_ZN9rocsparseL14csr2coo_kernelILj256ELj128EilEEvT2_PKT1_S4_PS1_21rocsparse_index_base_, .Lfunc_end22-_ZN9rocsparseL14csr2coo_kernelILj256ELj128EilEEvT2_PKT1_S4_PS1_21rocsparse_index_base_
                                        ; -- End function
	.set _ZN9rocsparseL14csr2coo_kernelILj256ELj128EilEEvT2_PKT1_S4_PS1_21rocsparse_index_base_.num_vgpr, 10
	.set _ZN9rocsparseL14csr2coo_kernelILj256ELj128EilEEvT2_PKT1_S4_PS1_21rocsparse_index_base_.num_agpr, 0
	.set _ZN9rocsparseL14csr2coo_kernelILj256ELj128EilEEvT2_PKT1_S4_PS1_21rocsparse_index_base_.numbered_sgpr, 20
	.set _ZN9rocsparseL14csr2coo_kernelILj256ELj128EilEEvT2_PKT1_S4_PS1_21rocsparse_index_base_.num_named_barrier, 0
	.set _ZN9rocsparseL14csr2coo_kernelILj256ELj128EilEEvT2_PKT1_S4_PS1_21rocsparse_index_base_.private_seg_size, 0
	.set _ZN9rocsparseL14csr2coo_kernelILj256ELj128EilEEvT2_PKT1_S4_PS1_21rocsparse_index_base_.uses_vcc, 1
	.set _ZN9rocsparseL14csr2coo_kernelILj256ELj128EilEEvT2_PKT1_S4_PS1_21rocsparse_index_base_.uses_flat_scratch, 0
	.set _ZN9rocsparseL14csr2coo_kernelILj256ELj128EilEEvT2_PKT1_S4_PS1_21rocsparse_index_base_.has_dyn_sized_stack, 0
	.set _ZN9rocsparseL14csr2coo_kernelILj256ELj128EilEEvT2_PKT1_S4_PS1_21rocsparse_index_base_.has_recursion, 0
	.set _ZN9rocsparseL14csr2coo_kernelILj256ELj128EilEEvT2_PKT1_S4_PS1_21rocsparse_index_base_.has_indirect_call, 0
	.section	.AMDGPU.csdata,"",@progbits
; Kernel info:
; codeLenInByte = 800
; TotalNumSgprs: 26
; NumVgprs: 10
; NumAgprs: 0
; TotalNumVgprs: 10
; ScratchSize: 0
; MemoryBound: 0
; FloatMode: 240
; IeeeMode: 1
; LDSByteSize: 12 bytes/workgroup (compile time only)
; SGPRBlocks: 3
; VGPRBlocks: 1
; NumSGPRsForWavesPerEU: 26
; NumVGPRsForWavesPerEU: 10
; AccumOffset: 12
; Occupancy: 8
; WaveLimiterHint : 0
; COMPUTE_PGM_RSRC2:SCRATCH_EN: 0
; COMPUTE_PGM_RSRC2:USER_SGPR: 2
; COMPUTE_PGM_RSRC2:TRAP_HANDLER: 0
; COMPUTE_PGM_RSRC2:TGID_X_EN: 1
; COMPUTE_PGM_RSRC2:TGID_Y_EN: 0
; COMPUTE_PGM_RSRC2:TGID_Z_EN: 0
; COMPUTE_PGM_RSRC2:TIDIG_COMP_CNT: 0
; COMPUTE_PGM_RSRC3_GFX90A:ACCUM_OFFSET: 2
; COMPUTE_PGM_RSRC3_GFX90A:TG_SPLIT: 0
	.section	.text._ZN9rocsparseL14csr2coo_kernelILj256ELj256EilEEvT2_PKT1_S4_PS1_21rocsparse_index_base_,"axG",@progbits,_ZN9rocsparseL14csr2coo_kernelILj256ELj256EilEEvT2_PKT1_S4_PS1_21rocsparse_index_base_,comdat
	.globl	_ZN9rocsparseL14csr2coo_kernelILj256ELj256EilEEvT2_PKT1_S4_PS1_21rocsparse_index_base_ ; -- Begin function _ZN9rocsparseL14csr2coo_kernelILj256ELj256EilEEvT2_PKT1_S4_PS1_21rocsparse_index_base_
	.p2align	8
	.type	_ZN9rocsparseL14csr2coo_kernelILj256ELj256EilEEvT2_PKT1_S4_PS1_21rocsparse_index_base_,@function
_ZN9rocsparseL14csr2coo_kernelILj256ELj256EilEEvT2_PKT1_S4_PS1_21rocsparse_index_base_: ; @_ZN9rocsparseL14csr2coo_kernelILj256ELj256EilEEvT2_PKT1_S4_PS1_21rocsparse_index_base_
; %bb.0:
	s_load_dwordx8 s[4:11], s[0:1], 0x0
	s_load_dword s12, s[0:1], 0x20
	v_mov_b32_e32 v1, 0
	v_mov_b32_e32 v2, 1
	s_mov_b32 s3, 0
	s_waitcnt lgkmcnt(0)
	v_mov_b64_e32 v[4:5], s[4:5]
	ds_write_b32 v1, v2 offset:4
	v_mov_b64_e32 v[2:3], s[2:3]
	v_cmp_lt_i64_e32 vcc, s[2:3], v[4:5]
	v_mov_b32_e32 v4, 0
	s_waitcnt lgkmcnt(0)
	s_barrier
	s_and_saveexec_b64 s[0:1], vcc
	s_cbranch_execz .LBB23_2
; %bb.1:
	v_lshl_add_u64 v[4:5], v[2:3], 2, s[6:7]
	global_load_dword v4, v[4:5], off
	s_waitcnt vmcnt(0)
	v_subrev_u32_e32 v4, s12, v4
.LBB23_2:
	s_or_b64 exec, exec, s[0:1]
	s_and_saveexec_b64 s[0:1], vcc
	s_cbranch_execz .LBB23_4
; %bb.3:
	v_lshl_add_u64 v[6:7], v[2:3], 2, s[8:9]
	global_load_dword v1, v[6:7], off
	s_waitcnt vmcnt(0)
	v_subrev_u32_e32 v1, s12, v1
.LBB23_4:
	s_or_b64 exec, exec, s[0:1]
	v_sub_u32_e32 v5, v1, v4
	s_movk_i32 s0, 0x801
	v_cmp_gt_u32_e32 vcc, s0, v5
	s_movk_i32 s0, 0x800
	v_cmp_lt_u32_e64 s[0:1], s0, v5
	s_and_saveexec_b64 s[14:15], s[0:1]
	s_xor_b64 s[0:1], exec, s[14:15]
; %bb.5:
	v_mov_b32_e32 v1, 0
	ds_write_b32 v1, v1 offset:4
                                        ; implicit-def: $vgpr4
                                        ; implicit-def: $vgpr1
                                        ; implicit-def: $vgpr2_vgpr3
; %bb.6:
	s_andn2_saveexec_b64 s[14:15], s[0:1]
	s_cbranch_execz .LBB23_11
; %bb.7:
	v_add_u32_e32 v4, v4, v0
	v_cmp_lt_i32_e64 s[0:1], v4, v1
	s_and_saveexec_b64 s[16:17], s[0:1]
	s_cbranch_execz .LBB23_10
; %bb.8:
	s_mov_b32 s13, 0
	v_lshl_add_u64 v[2:3], v[2:3], 0, s[12:13]
	s_mov_b64 s[18:19], 0
.LBB23_9:                               ; =>This Inner Loop Header: Depth=1
	v_ashrrev_i32_e32 v5, 31, v4
	v_lshl_add_u64 v[6:7], v[4:5], 3, s[10:11]
	v_add_u32_e32 v4, 0x100, v4
	v_cmp_ge_i32_e64 s[0:1], v4, v1
	s_or_b64 s[18:19], s[0:1], s[18:19]
	global_store_dwordx2 v[6:7], v[2:3], off
	s_andn2_b64 exec, exec, s[18:19]
	s_cbranch_execnz .LBB23_9
.LBB23_10:
	s_or_b64 exec, exec, s[16:17]
.LBB23_11:
	s_or_b64 exec, exec, s[14:15]
	v_cndmask_b32_e64 v2, 0, 1, vcc
	v_mov_b32_e32 v1, 0
	ds_write_b32 v1, v2
	s_waitcnt lgkmcnt(0)
	s_barrier
	ds_read_b32 v2, v1 offset:4
	s_waitcnt lgkmcnt(0)
	v_cmp_ne_u32_e32 vcc, 0, v2
	s_cbranch_vccnz .LBB23_20
; %bb.12:
	ds_read_b32 v1, v1
	s_waitcnt lgkmcnt(0)
	v_cmp_ne_u32_e32 vcc, 0, v1
	s_cbranch_vccnz .LBB23_20
; %bb.13:
	v_mov_b64_e32 v[2:3], s[2:3]
	v_cmp_le_i64_e32 vcc, s[4:5], v[2:3]
	v_cmp_gt_i64_e64 s[0:1], s[4:5], v[2:3]
	s_mov_b32 s4, 0
	s_mov_b32 s5, 0
	s_cbranch_vccz .LBB23_16
; %bb.14:
	s_andn2_b64 vcc, exec, s[0:1]
	s_cbranch_vccz .LBB23_17
.LBB23_15:
	v_add_u32_e32 v0, s5, v0
	v_cmp_gt_i32_e32 vcc, s4, v0
	s_and_saveexec_b64 s[0:1], vcc
	s_cbranch_execnz .LBB23_18
	s_branch .LBB23_20
.LBB23_16:
	s_lshl_b64 s[14:15], s[2:3], 2
	s_add_u32 s6, s6, s14
	s_addc_u32 s7, s7, s15
	s_load_dword s5, s[6:7], 0x0
	s_waitcnt lgkmcnt(0)
	s_sub_i32 s5, s5, s12
	s_andn2_b64 vcc, exec, s[0:1]
	s_cbranch_vccnz .LBB23_15
.LBB23_17:
	s_lshl_b64 s[0:1], s[2:3], 2
	s_add_u32 s0, s8, s0
	s_addc_u32 s1, s9, s1
	s_load_dword s0, s[0:1], 0x0
	s_waitcnt lgkmcnt(0)
	s_sub_i32 s4, s0, s12
	v_add_u32_e32 v0, s5, v0
	v_cmp_gt_i32_e32 vcc, s4, v0
	s_and_saveexec_b64 s[0:1], vcc
	s_cbranch_execz .LBB23_20
.LBB23_18:
	s_add_u32 s2, s12, s2
	s_addc_u32 s3, 0, 0
	s_mov_b64 s[0:1], 0
	v_mov_b64_e32 v[2:3], s[2:3]
.LBB23_19:                              ; =>This Inner Loop Header: Depth=1
	v_ashrrev_i32_e32 v1, 31, v0
	v_lshl_add_u64 v[4:5], v[0:1], 3, s[10:11]
	v_add_u32_e32 v0, 0x100, v0
	v_cmp_le_i32_e32 vcc, s4, v0
	s_or_b64 s[0:1], vcc, s[0:1]
	global_store_dwordx2 v[4:5], v[2:3], off
	s_andn2_b64 exec, exec, s[0:1]
	s_cbranch_execnz .LBB23_19
.LBB23_20:
	s_endpgm
	.section	.rodata,"a",@progbits
	.p2align	6, 0x0
	.amdhsa_kernel _ZN9rocsparseL14csr2coo_kernelILj256ELj256EilEEvT2_PKT1_S4_PS1_21rocsparse_index_base_
		.amdhsa_group_segment_fixed_size 8
		.amdhsa_private_segment_fixed_size 0
		.amdhsa_kernarg_size 36
		.amdhsa_user_sgpr_count 2
		.amdhsa_user_sgpr_dispatch_ptr 0
		.amdhsa_user_sgpr_queue_ptr 0
		.amdhsa_user_sgpr_kernarg_segment_ptr 1
		.amdhsa_user_sgpr_dispatch_id 0
		.amdhsa_user_sgpr_kernarg_preload_length 0
		.amdhsa_user_sgpr_kernarg_preload_offset 0
		.amdhsa_user_sgpr_private_segment_size 0
		.amdhsa_uses_dynamic_stack 0
		.amdhsa_enable_private_segment 0
		.amdhsa_system_sgpr_workgroup_id_x 1
		.amdhsa_system_sgpr_workgroup_id_y 0
		.amdhsa_system_sgpr_workgroup_id_z 0
		.amdhsa_system_sgpr_workgroup_info 0
		.amdhsa_system_vgpr_workitem_id 0
		.amdhsa_next_free_vgpr 8
		.amdhsa_next_free_sgpr 20
		.amdhsa_accum_offset 8
		.amdhsa_reserve_vcc 1
		.amdhsa_float_round_mode_32 0
		.amdhsa_float_round_mode_16_64 0
		.amdhsa_float_denorm_mode_32 3
		.amdhsa_float_denorm_mode_16_64 3
		.amdhsa_dx10_clamp 1
		.amdhsa_ieee_mode 1
		.amdhsa_fp16_overflow 0
		.amdhsa_tg_split 0
		.amdhsa_exception_fp_ieee_invalid_op 0
		.amdhsa_exception_fp_denorm_src 0
		.amdhsa_exception_fp_ieee_div_zero 0
		.amdhsa_exception_fp_ieee_overflow 0
		.amdhsa_exception_fp_ieee_underflow 0
		.amdhsa_exception_fp_ieee_inexact 0
		.amdhsa_exception_int_div_zero 0
	.end_amdhsa_kernel
	.section	.text._ZN9rocsparseL14csr2coo_kernelILj256ELj256EilEEvT2_PKT1_S4_PS1_21rocsparse_index_base_,"axG",@progbits,_ZN9rocsparseL14csr2coo_kernelILj256ELj256EilEEvT2_PKT1_S4_PS1_21rocsparse_index_base_,comdat
.Lfunc_end23:
	.size	_ZN9rocsparseL14csr2coo_kernelILj256ELj256EilEEvT2_PKT1_S4_PS1_21rocsparse_index_base_, .Lfunc_end23-_ZN9rocsparseL14csr2coo_kernelILj256ELj256EilEEvT2_PKT1_S4_PS1_21rocsparse_index_base_
                                        ; -- End function
	.set _ZN9rocsparseL14csr2coo_kernelILj256ELj256EilEEvT2_PKT1_S4_PS1_21rocsparse_index_base_.num_vgpr, 8
	.set _ZN9rocsparseL14csr2coo_kernelILj256ELj256EilEEvT2_PKT1_S4_PS1_21rocsparse_index_base_.num_agpr, 0
	.set _ZN9rocsparseL14csr2coo_kernelILj256ELj256EilEEvT2_PKT1_S4_PS1_21rocsparse_index_base_.numbered_sgpr, 20
	.set _ZN9rocsparseL14csr2coo_kernelILj256ELj256EilEEvT2_PKT1_S4_PS1_21rocsparse_index_base_.num_named_barrier, 0
	.set _ZN9rocsparseL14csr2coo_kernelILj256ELj256EilEEvT2_PKT1_S4_PS1_21rocsparse_index_base_.private_seg_size, 0
	.set _ZN9rocsparseL14csr2coo_kernelILj256ELj256EilEEvT2_PKT1_S4_PS1_21rocsparse_index_base_.uses_vcc, 1
	.set _ZN9rocsparseL14csr2coo_kernelILj256ELj256EilEEvT2_PKT1_S4_PS1_21rocsparse_index_base_.uses_flat_scratch, 0
	.set _ZN9rocsparseL14csr2coo_kernelILj256ELj256EilEEvT2_PKT1_S4_PS1_21rocsparse_index_base_.has_dyn_sized_stack, 0
	.set _ZN9rocsparseL14csr2coo_kernelILj256ELj256EilEEvT2_PKT1_S4_PS1_21rocsparse_index_base_.has_recursion, 0
	.set _ZN9rocsparseL14csr2coo_kernelILj256ELj256EilEEvT2_PKT1_S4_PS1_21rocsparse_index_base_.has_indirect_call, 0
	.section	.AMDGPU.csdata,"",@progbits
; Kernel info:
; codeLenInByte = 548
; TotalNumSgprs: 26
; NumVgprs: 8
; NumAgprs: 0
; TotalNumVgprs: 8
; ScratchSize: 0
; MemoryBound: 0
; FloatMode: 240
; IeeeMode: 1
; LDSByteSize: 8 bytes/workgroup (compile time only)
; SGPRBlocks: 3
; VGPRBlocks: 0
; NumSGPRsForWavesPerEU: 26
; NumVGPRsForWavesPerEU: 8
; AccumOffset: 8
; Occupancy: 8
; WaveLimiterHint : 0
; COMPUTE_PGM_RSRC2:SCRATCH_EN: 0
; COMPUTE_PGM_RSRC2:USER_SGPR: 2
; COMPUTE_PGM_RSRC2:TRAP_HANDLER: 0
; COMPUTE_PGM_RSRC2:TGID_X_EN: 1
; COMPUTE_PGM_RSRC2:TGID_Y_EN: 0
; COMPUTE_PGM_RSRC2:TGID_Z_EN: 0
; COMPUTE_PGM_RSRC2:TIDIG_COMP_CNT: 0
; COMPUTE_PGM_RSRC3_GFX90A:ACCUM_OFFSET: 1
; COMPUTE_PGM_RSRC3_GFX90A:TG_SPLIT: 0
	.section	.text._ZN9rocsparseL14csr2coo_kernelILj256ELj2EllEEvT2_PKT1_S4_PS1_21rocsparse_index_base_,"axG",@progbits,_ZN9rocsparseL14csr2coo_kernelILj256ELj2EllEEvT2_PKT1_S4_PS1_21rocsparse_index_base_,comdat
	.globl	_ZN9rocsparseL14csr2coo_kernelILj256ELj2EllEEvT2_PKT1_S4_PS1_21rocsparse_index_base_ ; -- Begin function _ZN9rocsparseL14csr2coo_kernelILj256ELj2EllEEvT2_PKT1_S4_PS1_21rocsparse_index_base_
	.p2align	8
	.type	_ZN9rocsparseL14csr2coo_kernelILj256ELj2EllEEvT2_PKT1_S4_PS1_21rocsparse_index_base_,@function
_ZN9rocsparseL14csr2coo_kernelILj256ELj2EllEEvT2_PKT1_S4_PS1_21rocsparse_index_base_: ; @_ZN9rocsparseL14csr2coo_kernelILj256ELj2EllEEvT2_PKT1_S4_PS1_21rocsparse_index_base_
; %bb.0:
	s_load_dwordx8 s[4:11], s[0:1], 0x0
	s_load_dword s12, s[0:1], 0x20
	v_mov_b32_e32 v1, 0
	v_lshrrev_b32_e32 v3, 1, v0
	s_lshl_b32 s20, s2, 7
	v_mov_b32_e32 v2, 1
	v_or_b32_e32 v4, s20, v3
	v_mov_b32_e32 v5, v1
	ds_write_b32 v1, v2 offset:512
	s_waitcnt lgkmcnt(0)
	v_cmp_gt_i64_e32 vcc, s[4:5], v[4:5]
	v_mov_b64_e32 v[2:3], 0
	v_mov_b64_e32 v[6:7], 0
	s_barrier
	s_and_saveexec_b64 s[2:3], vcc
	s_cbranch_execz .LBB24_2
; %bb.1:
	v_lshl_add_u64 v[6:7], v[4:5], 3, s[6:7]
	global_load_dwordx2 v[6:7], v[6:7], off
	s_waitcnt vmcnt(0)
	v_subrev_co_u32_e64 v6, s[0:1], s12, v6
	s_nop 1
	v_subbrev_co_u32_e64 v7, s[0:1], 0, v7, s[0:1]
.LBB24_2:
	s_or_b64 exec, exec, s[2:3]
	s_and_saveexec_b64 s[0:1], vcc
	s_cbranch_execz .LBB24_4
; %bb.3:
	v_lshl_add_u64 v[2:3], v[4:5], 3, s[8:9]
	global_load_dwordx2 v[2:3], v[2:3], off
	s_waitcnt vmcnt(0)
	v_subrev_co_u32_e32 v2, vcc, s12, v2
	s_nop 1
	v_subbrev_co_u32_e32 v3, vcc, 0, v3, vcc
.LBB24_4:
	s_or_b64 exec, exec, s[0:1]
	v_sub_co_u32_e32 v8, vcc, v2, v6
	s_nop 1
	v_subb_co_u32_e32 v9, vcc, v3, v7, vcc
	v_cmp_gt_i64_e32 vcc, 17, v[8:9]
	v_cmp_lt_i64_e64 s[0:1], 16, v[8:9]
	s_and_saveexec_b64 s[2:3], s[0:1]
	s_xor_b64 s[0:1], exec, s[2:3]
; %bb.5:
	v_mov_b32_e32 v2, 0
	ds_write_b32 v2, v2 offset:512
                                        ; implicit-def: $vgpr6_vgpr7
                                        ; implicit-def: $vgpr2_vgpr3
                                        ; implicit-def: $vgpr4_vgpr5
; %bb.6:
	s_andn2_saveexec_b64 s[2:3], s[0:1]
	s_cbranch_execz .LBB24_11
; %bb.7:
	v_and_b32_e32 v8, 1, v0
	v_mov_b32_e32 v9, 0
	v_lshl_add_u64 v[6:7], v[6:7], 0, v[8:9]
	v_cmp_lt_i64_e64 s[0:1], v[6:7], v[2:3]
	s_and_saveexec_b64 s[14:15], s[0:1]
	s_cbranch_execz .LBB24_10
; %bb.8:
	s_mov_b32 s13, 0
	v_lshl_add_u64 v[4:5], v[4:5], 0, s[12:13]
	v_lshl_add_u64 v[8:9], v[6:7], 3, s[10:11]
	s_mov_b64 s[16:17], 0
.LBB24_9:                               ; =>This Inner Loop Header: Depth=1
	v_lshl_add_u64 v[6:7], v[6:7], 0, 2
	v_cmp_ge_i64_e64 s[0:1], v[6:7], v[2:3]
	global_store_dwordx2 v[8:9], v[4:5], off
	s_or_b64 s[16:17], s[0:1], s[16:17]
	v_lshl_add_u64 v[8:9], v[8:9], 0, 16
	s_andn2_b64 exec, exec, s[16:17]
	s_cbranch_execnz .LBB24_9
.LBB24_10:
	s_or_b64 exec, exec, s[14:15]
.LBB24_11:
	s_or_b64 exec, exec, s[2:3]
	v_lshlrev_b32_e32 v3, 1, v0
	v_cndmask_b32_e64 v2, 0, 1, vcc
	v_and_b32_e32 v3, 0x1fc, v3
	v_mov_b32_e32 v8, 0
	ds_write_b32 v3, v2
	s_waitcnt lgkmcnt(0)
	s_barrier
	ds_read_b32 v2, v8 offset:512
	s_mov_b32 s3, 0
	s_waitcnt lgkmcnt(0)
	v_cmp_ne_u32_e32 vcc, 0, v2
	s_cbranch_vccz .LBB24_13
.LBB24_12:
	s_endpgm
.LBB24_13:
	s_or_b32 s13, s20, 1
	s_mov_b64 s[14:15], 0x100
	s_mov_b64 s[16:17], 0x800
	s_mov_b32 s21, 0
	s_branch .LBB24_16
.LBB24_14:                              ;   in Loop: Header=BB24_16 Depth=1
	s_or_b64 exec, exec, s[0:1]
.LBB24_15:                              ;   in Loop: Header=BB24_16 Depth=1
	s_add_i32 s21, s21, 2
	s_cmpk_lg_i32 s21, 0x80
	s_cbranch_scc0 .LBB24_12
.LBB24_16:                              ; =>This Loop Header: Depth=1
                                        ;     Child Loop BB24_23 Depth 2
                                        ;     Child Loop BB24_32 Depth 2
	s_lshl_b32 s22, s21, 2
	v_mov_b32_e32 v2, s22
	ds_read_b32 v2, v2
	s_waitcnt lgkmcnt(0)
	v_cmp_ne_u32_e32 vcc, 0, v2
	s_cbranch_vccnz .LBB24_25
; %bb.17:                               ;   in Loop: Header=BB24_16 Depth=1
	s_or_b32 s2, s21, s20
	v_mov_b64_e32 v[2:3], s[2:3]
	v_cmp_le_i64_e32 vcc, s[4:5], v[2:3]
	v_cmp_gt_i64_e64 s[0:1], s[4:5], v[2:3]
	v_mov_b64_e32 v[2:3], 0
	v_mov_b64_e32 v[4:5], 0
	s_cbranch_vccz .LBB24_20
; %bb.18:                               ;   in Loop: Header=BB24_16 Depth=1
	s_andn2_b64 vcc, exec, s[0:1]
	s_cbranch_vccz .LBB24_21
.LBB24_19:                              ;   in Loop: Header=BB24_16 Depth=1
	v_lshl_add_u64 v[4:5], v[4:5], 0, v[0:1]
	v_cmp_lt_i64_e32 vcc, v[4:5], v[2:3]
	s_and_saveexec_b64 s[0:1], vcc
	s_cbranch_execnz .LBB24_22
	s_branch .LBB24_24
.LBB24_20:                              ;   in Loop: Header=BB24_16 Depth=1
	s_lshl_b64 s[18:19], s[2:3], 3
	s_add_u32 s18, s6, s18
	s_addc_u32 s19, s7, s19
	global_load_dwordx2 v[4:5], v8, s[18:19]
	s_waitcnt vmcnt(0)
	v_subrev_co_u32_e32 v4, vcc, s12, v4
	s_nop 1
	v_subbrev_co_u32_e32 v5, vcc, 0, v5, vcc
	s_andn2_b64 vcc, exec, s[0:1]
	s_cbranch_vccnz .LBB24_19
.LBB24_21:                              ;   in Loop: Header=BB24_16 Depth=1
	s_lshl_b64 s[0:1], s[2:3], 3
	s_add_u32 s0, s8, s0
	s_addc_u32 s1, s9, s1
	global_load_dwordx2 v[2:3], v8, s[0:1]
	s_waitcnt vmcnt(0)
	v_subrev_co_u32_e32 v2, vcc, s12, v2
	s_nop 1
	v_subbrev_co_u32_e32 v3, vcc, 0, v3, vcc
	v_lshl_add_u64 v[4:5], v[4:5], 0, v[0:1]
	v_cmp_lt_i64_e32 vcc, v[4:5], v[2:3]
	s_and_saveexec_b64 s[0:1], vcc
	s_cbranch_execz .LBB24_24
.LBB24_22:                              ;   in Loop: Header=BB24_16 Depth=1
	s_add_u32 s24, s2, s12
	s_addc_u32 s25, 0, 0
	v_lshl_add_u64 v[6:7], v[4:5], 3, s[10:11]
	s_mov_b64 s[18:19], 0
	v_mov_b64_e32 v[10:11], s[24:25]
.LBB24_23:                              ;   Parent Loop BB24_16 Depth=1
                                        ; =>  This Inner Loop Header: Depth=2
	v_lshl_add_u64 v[4:5], v[4:5], 0, s[14:15]
	v_cmp_ge_i64_e32 vcc, v[4:5], v[2:3]
	global_store_dwordx2 v[6:7], v[10:11], off
	s_or_b64 s[18:19], vcc, s[18:19]
	v_lshl_add_u64 v[6:7], v[6:7], 0, s[16:17]
	s_andn2_b64 exec, exec, s[18:19]
	s_cbranch_execnz .LBB24_23
.LBB24_24:                              ;   in Loop: Header=BB24_16 Depth=1
	s_or_b64 exec, exec, s[0:1]
.LBB24_25:                              ;   in Loop: Header=BB24_16 Depth=1
	v_mov_b32_e32 v2, s22
	ds_read_b32 v2, v2 offset:4
	s_waitcnt lgkmcnt(0)
	v_cmp_ne_u32_e32 vcc, 0, v2
	s_cbranch_vccnz .LBB24_15
; %bb.26:                               ;   in Loop: Header=BB24_16 Depth=1
	s_or_b32 s2, s21, s13
	v_mov_b64_e32 v[2:3], s[2:3]
	v_cmp_le_i64_e32 vcc, s[4:5], v[2:3]
	v_cmp_gt_i64_e64 s[0:1], s[4:5], v[2:3]
	v_mov_b64_e32 v[2:3], 0
	v_mov_b64_e32 v[4:5], 0
	s_cbranch_vccz .LBB24_29
; %bb.27:                               ;   in Loop: Header=BB24_16 Depth=1
	s_andn2_b64 vcc, exec, s[0:1]
	s_cbranch_vccz .LBB24_30
.LBB24_28:                              ;   in Loop: Header=BB24_16 Depth=1
	v_lshl_add_u64 v[4:5], v[4:5], 0, v[0:1]
	v_cmp_lt_i64_e32 vcc, v[4:5], v[2:3]
	s_and_saveexec_b64 s[0:1], vcc
	s_cbranch_execz .LBB24_14
	s_branch .LBB24_31
.LBB24_29:                              ;   in Loop: Header=BB24_16 Depth=1
	s_add_u32 s18, s21, s20
	s_addc_u32 s19, 0, 0
	s_lshl_b64 s[18:19], s[18:19], 3
	s_add_u32 s18, s6, s18
	s_addc_u32 s19, s7, s19
	global_load_dwordx2 v[4:5], v8, s[18:19] offset:8
	s_waitcnt vmcnt(0)
	v_subrev_co_u32_e32 v4, vcc, s12, v4
	s_nop 1
	v_subbrev_co_u32_e32 v5, vcc, 0, v5, vcc
	s_andn2_b64 vcc, exec, s[0:1]
	s_cbranch_vccnz .LBB24_28
.LBB24_30:                              ;   in Loop: Header=BB24_16 Depth=1
	s_add_u32 s0, s21, s20
	s_addc_u32 s1, 0, 0
	s_lshl_b64 s[0:1], s[0:1], 3
	s_add_u32 s0, s8, s0
	s_addc_u32 s1, s9, s1
	global_load_dwordx2 v[2:3], v8, s[0:1] offset:8
	s_waitcnt vmcnt(0)
	v_subrev_co_u32_e32 v2, vcc, s12, v2
	s_nop 1
	v_subbrev_co_u32_e32 v3, vcc, 0, v3, vcc
	v_lshl_add_u64 v[4:5], v[4:5], 0, v[0:1]
	v_cmp_lt_i64_e32 vcc, v[4:5], v[2:3]
	s_and_saveexec_b64 s[0:1], vcc
	s_cbranch_execz .LBB24_14
.LBB24_31:                              ;   in Loop: Header=BB24_16 Depth=1
	s_add_u32 s22, s2, s12
	s_addc_u32 s23, 0, 0
	v_lshl_add_u64 v[6:7], v[4:5], 3, s[10:11]
	s_mov_b64 s[18:19], 0
	v_mov_b64_e32 v[10:11], s[22:23]
.LBB24_32:                              ;   Parent Loop BB24_16 Depth=1
                                        ; =>  This Inner Loop Header: Depth=2
	v_lshl_add_u64 v[4:5], v[4:5], 0, s[14:15]
	v_cmp_ge_i64_e32 vcc, v[4:5], v[2:3]
	global_store_dwordx2 v[6:7], v[10:11], off
	s_or_b64 s[18:19], vcc, s[18:19]
	v_lshl_add_u64 v[6:7], v[6:7], 0, s[16:17]
	s_andn2_b64 exec, exec, s[18:19]
	s_cbranch_execnz .LBB24_32
	s_branch .LBB24_14
	.section	.rodata,"a",@progbits
	.p2align	6, 0x0
	.amdhsa_kernel _ZN9rocsparseL14csr2coo_kernelILj256ELj2EllEEvT2_PKT1_S4_PS1_21rocsparse_index_base_
		.amdhsa_group_segment_fixed_size 516
		.amdhsa_private_segment_fixed_size 0
		.amdhsa_kernarg_size 36
		.amdhsa_user_sgpr_count 2
		.amdhsa_user_sgpr_dispatch_ptr 0
		.amdhsa_user_sgpr_queue_ptr 0
		.amdhsa_user_sgpr_kernarg_segment_ptr 1
		.amdhsa_user_sgpr_dispatch_id 0
		.amdhsa_user_sgpr_kernarg_preload_length 0
		.amdhsa_user_sgpr_kernarg_preload_offset 0
		.amdhsa_user_sgpr_private_segment_size 0
		.amdhsa_uses_dynamic_stack 0
		.amdhsa_enable_private_segment 0
		.amdhsa_system_sgpr_workgroup_id_x 1
		.amdhsa_system_sgpr_workgroup_id_y 0
		.amdhsa_system_sgpr_workgroup_id_z 0
		.amdhsa_system_sgpr_workgroup_info 0
		.amdhsa_system_vgpr_workitem_id 0
		.amdhsa_next_free_vgpr 12
		.amdhsa_next_free_sgpr 26
		.amdhsa_accum_offset 12
		.amdhsa_reserve_vcc 1
		.amdhsa_float_round_mode_32 0
		.amdhsa_float_round_mode_16_64 0
		.amdhsa_float_denorm_mode_32 3
		.amdhsa_float_denorm_mode_16_64 3
		.amdhsa_dx10_clamp 1
		.amdhsa_ieee_mode 1
		.amdhsa_fp16_overflow 0
		.amdhsa_tg_split 0
		.amdhsa_exception_fp_ieee_invalid_op 0
		.amdhsa_exception_fp_denorm_src 0
		.amdhsa_exception_fp_ieee_div_zero 0
		.amdhsa_exception_fp_ieee_overflow 0
		.amdhsa_exception_fp_ieee_underflow 0
		.amdhsa_exception_fp_ieee_inexact 0
		.amdhsa_exception_int_div_zero 0
	.end_amdhsa_kernel
	.section	.text._ZN9rocsparseL14csr2coo_kernelILj256ELj2EllEEvT2_PKT1_S4_PS1_21rocsparse_index_base_,"axG",@progbits,_ZN9rocsparseL14csr2coo_kernelILj256ELj2EllEEvT2_PKT1_S4_PS1_21rocsparse_index_base_,comdat
.Lfunc_end24:
	.size	_ZN9rocsparseL14csr2coo_kernelILj256ELj2EllEEvT2_PKT1_S4_PS1_21rocsparse_index_base_, .Lfunc_end24-_ZN9rocsparseL14csr2coo_kernelILj256ELj2EllEEvT2_PKT1_S4_PS1_21rocsparse_index_base_
                                        ; -- End function
	.set _ZN9rocsparseL14csr2coo_kernelILj256ELj2EllEEvT2_PKT1_S4_PS1_21rocsparse_index_base_.num_vgpr, 12
	.set _ZN9rocsparseL14csr2coo_kernelILj256ELj2EllEEvT2_PKT1_S4_PS1_21rocsparse_index_base_.num_agpr, 0
	.set _ZN9rocsparseL14csr2coo_kernelILj256ELj2EllEEvT2_PKT1_S4_PS1_21rocsparse_index_base_.numbered_sgpr, 26
	.set _ZN9rocsparseL14csr2coo_kernelILj256ELj2EllEEvT2_PKT1_S4_PS1_21rocsparse_index_base_.num_named_barrier, 0
	.set _ZN9rocsparseL14csr2coo_kernelILj256ELj2EllEEvT2_PKT1_S4_PS1_21rocsparse_index_base_.private_seg_size, 0
	.set _ZN9rocsparseL14csr2coo_kernelILj256ELj2EllEEvT2_PKT1_S4_PS1_21rocsparse_index_base_.uses_vcc, 1
	.set _ZN9rocsparseL14csr2coo_kernelILj256ELj2EllEEvT2_PKT1_S4_PS1_21rocsparse_index_base_.uses_flat_scratch, 0
	.set _ZN9rocsparseL14csr2coo_kernelILj256ELj2EllEEvT2_PKT1_S4_PS1_21rocsparse_index_base_.has_dyn_sized_stack, 0
	.set _ZN9rocsparseL14csr2coo_kernelILj256ELj2EllEEvT2_PKT1_S4_PS1_21rocsparse_index_base_.has_recursion, 0
	.set _ZN9rocsparseL14csr2coo_kernelILj256ELj2EllEEvT2_PKT1_S4_PS1_21rocsparse_index_base_.has_indirect_call, 0
	.section	.AMDGPU.csdata,"",@progbits
; Kernel info:
; codeLenInByte = 968
; TotalNumSgprs: 32
; NumVgprs: 12
; NumAgprs: 0
; TotalNumVgprs: 12
; ScratchSize: 0
; MemoryBound: 0
; FloatMode: 240
; IeeeMode: 1
; LDSByteSize: 516 bytes/workgroup (compile time only)
; SGPRBlocks: 3
; VGPRBlocks: 1
; NumSGPRsForWavesPerEU: 32
; NumVGPRsForWavesPerEU: 12
; AccumOffset: 12
; Occupancy: 8
; WaveLimiterHint : 0
; COMPUTE_PGM_RSRC2:SCRATCH_EN: 0
; COMPUTE_PGM_RSRC2:USER_SGPR: 2
; COMPUTE_PGM_RSRC2:TRAP_HANDLER: 0
; COMPUTE_PGM_RSRC2:TGID_X_EN: 1
; COMPUTE_PGM_RSRC2:TGID_Y_EN: 0
; COMPUTE_PGM_RSRC2:TGID_Z_EN: 0
; COMPUTE_PGM_RSRC2:TIDIG_COMP_CNT: 0
; COMPUTE_PGM_RSRC3_GFX90A:ACCUM_OFFSET: 2
; COMPUTE_PGM_RSRC3_GFX90A:TG_SPLIT: 0
	.section	.text._ZN9rocsparseL14csr2coo_kernelILj256ELj4EllEEvT2_PKT1_S4_PS1_21rocsparse_index_base_,"axG",@progbits,_ZN9rocsparseL14csr2coo_kernelILj256ELj4EllEEvT2_PKT1_S4_PS1_21rocsparse_index_base_,comdat
	.globl	_ZN9rocsparseL14csr2coo_kernelILj256ELj4EllEEvT2_PKT1_S4_PS1_21rocsparse_index_base_ ; -- Begin function _ZN9rocsparseL14csr2coo_kernelILj256ELj4EllEEvT2_PKT1_S4_PS1_21rocsparse_index_base_
	.p2align	8
	.type	_ZN9rocsparseL14csr2coo_kernelILj256ELj4EllEEvT2_PKT1_S4_PS1_21rocsparse_index_base_,@function
_ZN9rocsparseL14csr2coo_kernelILj256ELj4EllEEvT2_PKT1_S4_PS1_21rocsparse_index_base_: ; @_ZN9rocsparseL14csr2coo_kernelILj256ELj4EllEEvT2_PKT1_S4_PS1_21rocsparse_index_base_
; %bb.0:
	s_load_dwordx8 s[4:11], s[0:1], 0x0
	s_load_dword s12, s[0:1], 0x20
	v_mov_b32_e32 v1, 0
	v_lshrrev_b32_e32 v2, 2, v0
	s_lshl_b32 s20, s2, 6
	v_mov_b32_e32 v3, 1
	v_or_b32_e32 v4, s20, v2
	v_mov_b32_e32 v5, v1
	ds_write_b32 v1, v3 offset:256
	s_waitcnt lgkmcnt(0)
	v_cmp_gt_i64_e32 vcc, s[4:5], v[4:5]
	v_mov_b64_e32 v[2:3], 0
	v_mov_b64_e32 v[6:7], 0
	s_barrier
	s_and_saveexec_b64 s[2:3], vcc
	s_cbranch_execz .LBB25_2
; %bb.1:
	v_lshl_add_u64 v[6:7], v[4:5], 3, s[6:7]
	global_load_dwordx2 v[6:7], v[6:7], off
	s_waitcnt vmcnt(0)
	v_subrev_co_u32_e64 v6, s[0:1], s12, v6
	s_nop 1
	v_subbrev_co_u32_e64 v7, s[0:1], 0, v7, s[0:1]
.LBB25_2:
	s_or_b64 exec, exec, s[2:3]
	s_and_saveexec_b64 s[0:1], vcc
	s_cbranch_execz .LBB25_4
; %bb.3:
	v_lshl_add_u64 v[2:3], v[4:5], 3, s[8:9]
	global_load_dwordx2 v[2:3], v[2:3], off
	s_waitcnt vmcnt(0)
	v_subrev_co_u32_e32 v2, vcc, s12, v2
	s_nop 1
	v_subbrev_co_u32_e32 v3, vcc, 0, v3, vcc
.LBB25_4:
	s_or_b64 exec, exec, s[0:1]
	v_sub_co_u32_e32 v8, vcc, v2, v6
	s_nop 1
	v_subb_co_u32_e32 v9, vcc, v3, v7, vcc
	v_cmp_gt_i64_e32 vcc, 33, v[8:9]
	v_cmp_lt_i64_e64 s[0:1], 32, v[8:9]
	s_and_saveexec_b64 s[2:3], s[0:1]
	s_xor_b64 s[0:1], exec, s[2:3]
; %bb.5:
	v_mov_b32_e32 v2, 0
	ds_write_b32 v2, v2 offset:256
                                        ; implicit-def: $vgpr6_vgpr7
                                        ; implicit-def: $vgpr2_vgpr3
                                        ; implicit-def: $vgpr4_vgpr5
; %bb.6:
	s_andn2_saveexec_b64 s[2:3], s[0:1]
	s_cbranch_execz .LBB25_11
; %bb.7:
	v_and_b32_e32 v8, 3, v0
	v_mov_b32_e32 v9, 0
	v_lshl_add_u64 v[6:7], v[6:7], 0, v[8:9]
	v_cmp_lt_i64_e64 s[0:1], v[6:7], v[2:3]
	s_and_saveexec_b64 s[14:15], s[0:1]
	s_cbranch_execz .LBB25_10
; %bb.8:
	s_mov_b32 s13, 0
	v_lshl_add_u64 v[4:5], v[4:5], 0, s[12:13]
	v_lshl_add_u64 v[8:9], v[6:7], 3, s[10:11]
	s_mov_b64 s[16:17], 0
.LBB25_9:                               ; =>This Inner Loop Header: Depth=1
	v_lshl_add_u64 v[6:7], v[6:7], 0, 4
	v_cmp_ge_i64_e64 s[0:1], v[6:7], v[2:3]
	global_store_dwordx2 v[8:9], v[4:5], off
	s_or_b64 s[16:17], s[0:1], s[16:17]
	v_lshl_add_u64 v[8:9], v[8:9], 0, 32
	s_andn2_b64 exec, exec, s[16:17]
	s_cbranch_execnz .LBB25_9
.LBB25_10:
	s_or_b64 exec, exec, s[14:15]
.LBB25_11:
	s_or_b64 exec, exec, s[2:3]
	v_cndmask_b32_e64 v2, 0, 1, vcc
	v_and_b32_e32 v3, 0xfc, v0
	v_mov_b32_e32 v8, 0
	ds_write_b32 v3, v2
	s_waitcnt lgkmcnt(0)
	s_barrier
	ds_read_b32 v2, v8 offset:256
	s_mov_b32 s3, 0
	s_waitcnt lgkmcnt(0)
	v_cmp_ne_u32_e32 vcc, 0, v2
	s_cbranch_vccz .LBB25_13
.LBB25_12:
	s_endpgm
.LBB25_13:
	s_or_b32 s13, s20, 1
	s_mov_b64 s[14:15], 0x100
	s_mov_b64 s[16:17], 0x800
	s_mov_b32 s21, 0
	s_branch .LBB25_16
.LBB25_14:                              ;   in Loop: Header=BB25_16 Depth=1
	s_or_b64 exec, exec, s[0:1]
.LBB25_15:                              ;   in Loop: Header=BB25_16 Depth=1
	s_add_i32 s21, s21, 2
	s_cmp_lg_u32 s21, 64
	s_cbranch_scc0 .LBB25_12
.LBB25_16:                              ; =>This Loop Header: Depth=1
                                        ;     Child Loop BB25_23 Depth 2
                                        ;     Child Loop BB25_32 Depth 2
	s_lshl_b32 s22, s21, 2
	v_mov_b32_e32 v2, s22
	ds_read_b32 v2, v2
	s_waitcnt lgkmcnt(0)
	v_cmp_ne_u32_e32 vcc, 0, v2
	s_cbranch_vccnz .LBB25_25
; %bb.17:                               ;   in Loop: Header=BB25_16 Depth=1
	s_or_b32 s2, s21, s20
	v_mov_b64_e32 v[2:3], s[2:3]
	v_cmp_le_i64_e32 vcc, s[4:5], v[2:3]
	v_cmp_gt_i64_e64 s[0:1], s[4:5], v[2:3]
	v_mov_b64_e32 v[2:3], 0
	v_mov_b64_e32 v[4:5], 0
	s_cbranch_vccz .LBB25_20
; %bb.18:                               ;   in Loop: Header=BB25_16 Depth=1
	s_andn2_b64 vcc, exec, s[0:1]
	s_cbranch_vccz .LBB25_21
.LBB25_19:                              ;   in Loop: Header=BB25_16 Depth=1
	v_lshl_add_u64 v[4:5], v[4:5], 0, v[0:1]
	v_cmp_lt_i64_e32 vcc, v[4:5], v[2:3]
	s_and_saveexec_b64 s[0:1], vcc
	s_cbranch_execnz .LBB25_22
	s_branch .LBB25_24
.LBB25_20:                              ;   in Loop: Header=BB25_16 Depth=1
	s_lshl_b64 s[18:19], s[2:3], 3
	s_add_u32 s18, s6, s18
	s_addc_u32 s19, s7, s19
	global_load_dwordx2 v[4:5], v8, s[18:19]
	s_waitcnt vmcnt(0)
	v_subrev_co_u32_e32 v4, vcc, s12, v4
	s_nop 1
	v_subbrev_co_u32_e32 v5, vcc, 0, v5, vcc
	s_andn2_b64 vcc, exec, s[0:1]
	s_cbranch_vccnz .LBB25_19
.LBB25_21:                              ;   in Loop: Header=BB25_16 Depth=1
	s_lshl_b64 s[0:1], s[2:3], 3
	s_add_u32 s0, s8, s0
	s_addc_u32 s1, s9, s1
	global_load_dwordx2 v[2:3], v8, s[0:1]
	s_waitcnt vmcnt(0)
	v_subrev_co_u32_e32 v2, vcc, s12, v2
	s_nop 1
	v_subbrev_co_u32_e32 v3, vcc, 0, v3, vcc
	v_lshl_add_u64 v[4:5], v[4:5], 0, v[0:1]
	v_cmp_lt_i64_e32 vcc, v[4:5], v[2:3]
	s_and_saveexec_b64 s[0:1], vcc
	s_cbranch_execz .LBB25_24
.LBB25_22:                              ;   in Loop: Header=BB25_16 Depth=1
	s_add_u32 s24, s2, s12
	s_addc_u32 s25, 0, 0
	v_lshl_add_u64 v[6:7], v[4:5], 3, s[10:11]
	s_mov_b64 s[18:19], 0
	v_mov_b64_e32 v[10:11], s[24:25]
.LBB25_23:                              ;   Parent Loop BB25_16 Depth=1
                                        ; =>  This Inner Loop Header: Depth=2
	v_lshl_add_u64 v[4:5], v[4:5], 0, s[14:15]
	v_cmp_ge_i64_e32 vcc, v[4:5], v[2:3]
	global_store_dwordx2 v[6:7], v[10:11], off
	s_or_b64 s[18:19], vcc, s[18:19]
	v_lshl_add_u64 v[6:7], v[6:7], 0, s[16:17]
	s_andn2_b64 exec, exec, s[18:19]
	s_cbranch_execnz .LBB25_23
.LBB25_24:                              ;   in Loop: Header=BB25_16 Depth=1
	s_or_b64 exec, exec, s[0:1]
.LBB25_25:                              ;   in Loop: Header=BB25_16 Depth=1
	v_mov_b32_e32 v2, s22
	ds_read_b32 v2, v2 offset:4
	s_waitcnt lgkmcnt(0)
	v_cmp_ne_u32_e32 vcc, 0, v2
	s_cbranch_vccnz .LBB25_15
; %bb.26:                               ;   in Loop: Header=BB25_16 Depth=1
	s_or_b32 s2, s21, s13
	v_mov_b64_e32 v[2:3], s[2:3]
	v_cmp_le_i64_e32 vcc, s[4:5], v[2:3]
	v_cmp_gt_i64_e64 s[0:1], s[4:5], v[2:3]
	v_mov_b64_e32 v[2:3], 0
	v_mov_b64_e32 v[4:5], 0
	s_cbranch_vccz .LBB25_29
; %bb.27:                               ;   in Loop: Header=BB25_16 Depth=1
	s_andn2_b64 vcc, exec, s[0:1]
	s_cbranch_vccz .LBB25_30
.LBB25_28:                              ;   in Loop: Header=BB25_16 Depth=1
	v_lshl_add_u64 v[4:5], v[4:5], 0, v[0:1]
	v_cmp_lt_i64_e32 vcc, v[4:5], v[2:3]
	s_and_saveexec_b64 s[0:1], vcc
	s_cbranch_execz .LBB25_14
	s_branch .LBB25_31
.LBB25_29:                              ;   in Loop: Header=BB25_16 Depth=1
	s_add_u32 s18, s21, s20
	s_addc_u32 s19, 0, 0
	s_lshl_b64 s[18:19], s[18:19], 3
	s_add_u32 s18, s6, s18
	s_addc_u32 s19, s7, s19
	global_load_dwordx2 v[4:5], v8, s[18:19] offset:8
	s_waitcnt vmcnt(0)
	v_subrev_co_u32_e32 v4, vcc, s12, v4
	s_nop 1
	v_subbrev_co_u32_e32 v5, vcc, 0, v5, vcc
	s_andn2_b64 vcc, exec, s[0:1]
	s_cbranch_vccnz .LBB25_28
.LBB25_30:                              ;   in Loop: Header=BB25_16 Depth=1
	s_add_u32 s0, s21, s20
	s_addc_u32 s1, 0, 0
	s_lshl_b64 s[0:1], s[0:1], 3
	s_add_u32 s0, s8, s0
	s_addc_u32 s1, s9, s1
	global_load_dwordx2 v[2:3], v8, s[0:1] offset:8
	s_waitcnt vmcnt(0)
	v_subrev_co_u32_e32 v2, vcc, s12, v2
	s_nop 1
	v_subbrev_co_u32_e32 v3, vcc, 0, v3, vcc
	v_lshl_add_u64 v[4:5], v[4:5], 0, v[0:1]
	v_cmp_lt_i64_e32 vcc, v[4:5], v[2:3]
	s_and_saveexec_b64 s[0:1], vcc
	s_cbranch_execz .LBB25_14
.LBB25_31:                              ;   in Loop: Header=BB25_16 Depth=1
	s_add_u32 s22, s2, s12
	s_addc_u32 s23, 0, 0
	v_lshl_add_u64 v[6:7], v[4:5], 3, s[10:11]
	s_mov_b64 s[18:19], 0
	v_mov_b64_e32 v[10:11], s[22:23]
.LBB25_32:                              ;   Parent Loop BB25_16 Depth=1
                                        ; =>  This Inner Loop Header: Depth=2
	v_lshl_add_u64 v[4:5], v[4:5], 0, s[14:15]
	v_cmp_ge_i64_e32 vcc, v[4:5], v[2:3]
	global_store_dwordx2 v[6:7], v[10:11], off
	s_or_b64 s[18:19], vcc, s[18:19]
	v_lshl_add_u64 v[6:7], v[6:7], 0, s[16:17]
	s_andn2_b64 exec, exec, s[18:19]
	s_cbranch_execnz .LBB25_32
	s_branch .LBB25_14
	.section	.rodata,"a",@progbits
	.p2align	6, 0x0
	.amdhsa_kernel _ZN9rocsparseL14csr2coo_kernelILj256ELj4EllEEvT2_PKT1_S4_PS1_21rocsparse_index_base_
		.amdhsa_group_segment_fixed_size 260
		.amdhsa_private_segment_fixed_size 0
		.amdhsa_kernarg_size 36
		.amdhsa_user_sgpr_count 2
		.amdhsa_user_sgpr_dispatch_ptr 0
		.amdhsa_user_sgpr_queue_ptr 0
		.amdhsa_user_sgpr_kernarg_segment_ptr 1
		.amdhsa_user_sgpr_dispatch_id 0
		.amdhsa_user_sgpr_kernarg_preload_length 0
		.amdhsa_user_sgpr_kernarg_preload_offset 0
		.amdhsa_user_sgpr_private_segment_size 0
		.amdhsa_uses_dynamic_stack 0
		.amdhsa_enable_private_segment 0
		.amdhsa_system_sgpr_workgroup_id_x 1
		.amdhsa_system_sgpr_workgroup_id_y 0
		.amdhsa_system_sgpr_workgroup_id_z 0
		.amdhsa_system_sgpr_workgroup_info 0
		.amdhsa_system_vgpr_workitem_id 0
		.amdhsa_next_free_vgpr 12
		.amdhsa_next_free_sgpr 26
		.amdhsa_accum_offset 12
		.amdhsa_reserve_vcc 1
		.amdhsa_float_round_mode_32 0
		.amdhsa_float_round_mode_16_64 0
		.amdhsa_float_denorm_mode_32 3
		.amdhsa_float_denorm_mode_16_64 3
		.amdhsa_dx10_clamp 1
		.amdhsa_ieee_mode 1
		.amdhsa_fp16_overflow 0
		.amdhsa_tg_split 0
		.amdhsa_exception_fp_ieee_invalid_op 0
		.amdhsa_exception_fp_denorm_src 0
		.amdhsa_exception_fp_ieee_div_zero 0
		.amdhsa_exception_fp_ieee_overflow 0
		.amdhsa_exception_fp_ieee_underflow 0
		.amdhsa_exception_fp_ieee_inexact 0
		.amdhsa_exception_int_div_zero 0
	.end_amdhsa_kernel
	.section	.text._ZN9rocsparseL14csr2coo_kernelILj256ELj4EllEEvT2_PKT1_S4_PS1_21rocsparse_index_base_,"axG",@progbits,_ZN9rocsparseL14csr2coo_kernelILj256ELj4EllEEvT2_PKT1_S4_PS1_21rocsparse_index_base_,comdat
.Lfunc_end25:
	.size	_ZN9rocsparseL14csr2coo_kernelILj256ELj4EllEEvT2_PKT1_S4_PS1_21rocsparse_index_base_, .Lfunc_end25-_ZN9rocsparseL14csr2coo_kernelILj256ELj4EllEEvT2_PKT1_S4_PS1_21rocsparse_index_base_
                                        ; -- End function
	.set _ZN9rocsparseL14csr2coo_kernelILj256ELj4EllEEvT2_PKT1_S4_PS1_21rocsparse_index_base_.num_vgpr, 12
	.set _ZN9rocsparseL14csr2coo_kernelILj256ELj4EllEEvT2_PKT1_S4_PS1_21rocsparse_index_base_.num_agpr, 0
	.set _ZN9rocsparseL14csr2coo_kernelILj256ELj4EllEEvT2_PKT1_S4_PS1_21rocsparse_index_base_.numbered_sgpr, 26
	.set _ZN9rocsparseL14csr2coo_kernelILj256ELj4EllEEvT2_PKT1_S4_PS1_21rocsparse_index_base_.num_named_barrier, 0
	.set _ZN9rocsparseL14csr2coo_kernelILj256ELj4EllEEvT2_PKT1_S4_PS1_21rocsparse_index_base_.private_seg_size, 0
	.set _ZN9rocsparseL14csr2coo_kernelILj256ELj4EllEEvT2_PKT1_S4_PS1_21rocsparse_index_base_.uses_vcc, 1
	.set _ZN9rocsparseL14csr2coo_kernelILj256ELj4EllEEvT2_PKT1_S4_PS1_21rocsparse_index_base_.uses_flat_scratch, 0
	.set _ZN9rocsparseL14csr2coo_kernelILj256ELj4EllEEvT2_PKT1_S4_PS1_21rocsparse_index_base_.has_dyn_sized_stack, 0
	.set _ZN9rocsparseL14csr2coo_kernelILj256ELj4EllEEvT2_PKT1_S4_PS1_21rocsparse_index_base_.has_recursion, 0
	.set _ZN9rocsparseL14csr2coo_kernelILj256ELj4EllEEvT2_PKT1_S4_PS1_21rocsparse_index_base_.has_indirect_call, 0
	.section	.AMDGPU.csdata,"",@progbits
; Kernel info:
; codeLenInByte = 964
; TotalNumSgprs: 32
; NumVgprs: 12
; NumAgprs: 0
; TotalNumVgprs: 12
; ScratchSize: 0
; MemoryBound: 0
; FloatMode: 240
; IeeeMode: 1
; LDSByteSize: 260 bytes/workgroup (compile time only)
; SGPRBlocks: 3
; VGPRBlocks: 1
; NumSGPRsForWavesPerEU: 32
; NumVGPRsForWavesPerEU: 12
; AccumOffset: 12
; Occupancy: 8
; WaveLimiterHint : 0
; COMPUTE_PGM_RSRC2:SCRATCH_EN: 0
; COMPUTE_PGM_RSRC2:USER_SGPR: 2
; COMPUTE_PGM_RSRC2:TRAP_HANDLER: 0
; COMPUTE_PGM_RSRC2:TGID_X_EN: 1
; COMPUTE_PGM_RSRC2:TGID_Y_EN: 0
; COMPUTE_PGM_RSRC2:TGID_Z_EN: 0
; COMPUTE_PGM_RSRC2:TIDIG_COMP_CNT: 0
; COMPUTE_PGM_RSRC3_GFX90A:ACCUM_OFFSET: 2
; COMPUTE_PGM_RSRC3_GFX90A:TG_SPLIT: 0
	.section	.text._ZN9rocsparseL14csr2coo_kernelILj256ELj8EllEEvT2_PKT1_S4_PS1_21rocsparse_index_base_,"axG",@progbits,_ZN9rocsparseL14csr2coo_kernelILj256ELj8EllEEvT2_PKT1_S4_PS1_21rocsparse_index_base_,comdat
	.globl	_ZN9rocsparseL14csr2coo_kernelILj256ELj8EllEEvT2_PKT1_S4_PS1_21rocsparse_index_base_ ; -- Begin function _ZN9rocsparseL14csr2coo_kernelILj256ELj8EllEEvT2_PKT1_S4_PS1_21rocsparse_index_base_
	.p2align	8
	.type	_ZN9rocsparseL14csr2coo_kernelILj256ELj8EllEEvT2_PKT1_S4_PS1_21rocsparse_index_base_,@function
_ZN9rocsparseL14csr2coo_kernelILj256ELj8EllEEvT2_PKT1_S4_PS1_21rocsparse_index_base_: ; @_ZN9rocsparseL14csr2coo_kernelILj256ELj8EllEEvT2_PKT1_S4_PS1_21rocsparse_index_base_
; %bb.0:
	s_load_dwordx8 s[4:11], s[0:1], 0x0
	s_load_dword s12, s[0:1], 0x20
	v_mov_b32_e32 v1, 0
	v_lshrrev_b32_e32 v2, 3, v0
	s_lshl_b32 s20, s2, 5
	v_mov_b32_e32 v3, 1
	v_or_b32_e32 v4, s20, v2
	v_mov_b32_e32 v5, v1
	ds_write_b32 v1, v3 offset:128
	s_waitcnt lgkmcnt(0)
	v_cmp_gt_i64_e32 vcc, s[4:5], v[4:5]
	v_mov_b64_e32 v[2:3], 0
	v_mov_b64_e32 v[6:7], 0
	s_barrier
	s_and_saveexec_b64 s[2:3], vcc
	s_cbranch_execz .LBB26_2
; %bb.1:
	v_lshl_add_u64 v[6:7], v[4:5], 3, s[6:7]
	global_load_dwordx2 v[6:7], v[6:7], off
	s_waitcnt vmcnt(0)
	v_subrev_co_u32_e64 v6, s[0:1], s12, v6
	s_nop 1
	v_subbrev_co_u32_e64 v7, s[0:1], 0, v7, s[0:1]
.LBB26_2:
	s_or_b64 exec, exec, s[2:3]
	s_and_saveexec_b64 s[0:1], vcc
	s_cbranch_execz .LBB26_4
; %bb.3:
	v_lshl_add_u64 v[2:3], v[4:5], 3, s[8:9]
	global_load_dwordx2 v[2:3], v[2:3], off
	s_waitcnt vmcnt(0)
	v_subrev_co_u32_e32 v2, vcc, s12, v2
	s_nop 1
	v_subbrev_co_u32_e32 v3, vcc, 0, v3, vcc
.LBB26_4:
	s_or_b64 exec, exec, s[0:1]
	v_sub_co_u32_e32 v8, vcc, v2, v6
	s_mov_b64 s[0:1], 0x41
	s_nop 0
	v_subb_co_u32_e32 v9, vcc, v3, v7, vcc
	v_cmp_gt_i64_e32 vcc, s[0:1], v[8:9]
	v_cmp_lt_i64_e64 s[0:1], 64, v[8:9]
	s_and_saveexec_b64 s[2:3], s[0:1]
	s_xor_b64 s[0:1], exec, s[2:3]
; %bb.5:
	v_mov_b32_e32 v2, 0
	ds_write_b32 v2, v2 offset:128
                                        ; implicit-def: $vgpr6_vgpr7
                                        ; implicit-def: $vgpr2_vgpr3
                                        ; implicit-def: $vgpr4_vgpr5
; %bb.6:
	s_andn2_saveexec_b64 s[2:3], s[0:1]
	s_cbranch_execz .LBB26_11
; %bb.7:
	v_and_b32_e32 v8, 7, v0
	v_mov_b32_e32 v9, 0
	v_lshl_add_u64 v[6:7], v[6:7], 0, v[8:9]
	v_cmp_lt_i64_e64 s[0:1], v[6:7], v[2:3]
	s_and_saveexec_b64 s[14:15], s[0:1]
	s_cbranch_execz .LBB26_10
; %bb.8:
	s_mov_b32 s13, 0
	v_lshl_add_u64 v[4:5], v[4:5], 0, s[12:13]
	v_lshl_add_u64 v[8:9], v[6:7], 3, s[10:11]
	s_mov_b64 s[16:17], 0
.LBB26_9:                               ; =>This Inner Loop Header: Depth=1
	v_lshl_add_u64 v[6:7], v[6:7], 0, 8
	v_cmp_ge_i64_e64 s[0:1], v[6:7], v[2:3]
	global_store_dwordx2 v[8:9], v[4:5], off
	s_or_b64 s[16:17], s[0:1], s[16:17]
	v_lshl_add_u64 v[8:9], v[8:9], 0, 64
	s_andn2_b64 exec, exec, s[16:17]
	s_cbranch_execnz .LBB26_9
.LBB26_10:
	s_or_b64 exec, exec, s[14:15]
.LBB26_11:
	s_or_b64 exec, exec, s[2:3]
	v_lshrrev_b32_e32 v3, 1, v0
	v_cndmask_b32_e64 v2, 0, 1, vcc
	v_and_b32_e32 v3, 0x7c, v3
	v_mov_b32_e32 v8, 0
	ds_write_b32 v3, v2
	s_waitcnt lgkmcnt(0)
	s_barrier
	ds_read_b32 v2, v8 offset:128
	s_mov_b32 s3, 0
	s_waitcnt lgkmcnt(0)
	v_cmp_ne_u32_e32 vcc, 0, v2
	s_cbranch_vccz .LBB26_13
.LBB26_12:
	s_endpgm
.LBB26_13:
	s_or_b32 s13, s20, 1
	s_mov_b64 s[14:15], 0x100
	s_mov_b64 s[16:17], 0x800
	s_mov_b32 s21, 0
	s_branch .LBB26_16
.LBB26_14:                              ;   in Loop: Header=BB26_16 Depth=1
	s_or_b64 exec, exec, s[0:1]
.LBB26_15:                              ;   in Loop: Header=BB26_16 Depth=1
	s_add_i32 s21, s21, 2
	s_cmp_lg_u32 s21, 32
	s_cbranch_scc0 .LBB26_12
.LBB26_16:                              ; =>This Loop Header: Depth=1
                                        ;     Child Loop BB26_23 Depth 2
                                        ;     Child Loop BB26_32 Depth 2
	s_lshl_b32 s22, s21, 2
	v_mov_b32_e32 v2, s22
	ds_read_b32 v2, v2
	s_waitcnt lgkmcnt(0)
	v_cmp_ne_u32_e32 vcc, 0, v2
	s_cbranch_vccnz .LBB26_25
; %bb.17:                               ;   in Loop: Header=BB26_16 Depth=1
	s_or_b32 s2, s21, s20
	v_mov_b64_e32 v[2:3], s[2:3]
	v_cmp_le_i64_e32 vcc, s[4:5], v[2:3]
	v_cmp_gt_i64_e64 s[0:1], s[4:5], v[2:3]
	v_mov_b64_e32 v[2:3], 0
	v_mov_b64_e32 v[4:5], 0
	s_cbranch_vccz .LBB26_20
; %bb.18:                               ;   in Loop: Header=BB26_16 Depth=1
	s_andn2_b64 vcc, exec, s[0:1]
	s_cbranch_vccz .LBB26_21
.LBB26_19:                              ;   in Loop: Header=BB26_16 Depth=1
	v_lshl_add_u64 v[4:5], v[4:5], 0, v[0:1]
	v_cmp_lt_i64_e32 vcc, v[4:5], v[2:3]
	s_and_saveexec_b64 s[0:1], vcc
	s_cbranch_execnz .LBB26_22
	s_branch .LBB26_24
.LBB26_20:                              ;   in Loop: Header=BB26_16 Depth=1
	s_lshl_b64 s[18:19], s[2:3], 3
	s_add_u32 s18, s6, s18
	s_addc_u32 s19, s7, s19
	global_load_dwordx2 v[4:5], v8, s[18:19]
	s_waitcnt vmcnt(0)
	v_subrev_co_u32_e32 v4, vcc, s12, v4
	s_nop 1
	v_subbrev_co_u32_e32 v5, vcc, 0, v5, vcc
	s_andn2_b64 vcc, exec, s[0:1]
	s_cbranch_vccnz .LBB26_19
.LBB26_21:                              ;   in Loop: Header=BB26_16 Depth=1
	s_lshl_b64 s[0:1], s[2:3], 3
	s_add_u32 s0, s8, s0
	s_addc_u32 s1, s9, s1
	global_load_dwordx2 v[2:3], v8, s[0:1]
	s_waitcnt vmcnt(0)
	v_subrev_co_u32_e32 v2, vcc, s12, v2
	s_nop 1
	v_subbrev_co_u32_e32 v3, vcc, 0, v3, vcc
	v_lshl_add_u64 v[4:5], v[4:5], 0, v[0:1]
	v_cmp_lt_i64_e32 vcc, v[4:5], v[2:3]
	s_and_saveexec_b64 s[0:1], vcc
	s_cbranch_execz .LBB26_24
.LBB26_22:                              ;   in Loop: Header=BB26_16 Depth=1
	s_add_u32 s24, s2, s12
	s_addc_u32 s25, 0, 0
	v_lshl_add_u64 v[6:7], v[4:5], 3, s[10:11]
	s_mov_b64 s[18:19], 0
	v_mov_b64_e32 v[10:11], s[24:25]
.LBB26_23:                              ;   Parent Loop BB26_16 Depth=1
                                        ; =>  This Inner Loop Header: Depth=2
	v_lshl_add_u64 v[4:5], v[4:5], 0, s[14:15]
	v_cmp_ge_i64_e32 vcc, v[4:5], v[2:3]
	global_store_dwordx2 v[6:7], v[10:11], off
	s_or_b64 s[18:19], vcc, s[18:19]
	v_lshl_add_u64 v[6:7], v[6:7], 0, s[16:17]
	s_andn2_b64 exec, exec, s[18:19]
	s_cbranch_execnz .LBB26_23
.LBB26_24:                              ;   in Loop: Header=BB26_16 Depth=1
	s_or_b64 exec, exec, s[0:1]
.LBB26_25:                              ;   in Loop: Header=BB26_16 Depth=1
	v_mov_b32_e32 v2, s22
	ds_read_b32 v2, v2 offset:4
	s_waitcnt lgkmcnt(0)
	v_cmp_ne_u32_e32 vcc, 0, v2
	s_cbranch_vccnz .LBB26_15
; %bb.26:                               ;   in Loop: Header=BB26_16 Depth=1
	s_or_b32 s2, s21, s13
	v_mov_b64_e32 v[2:3], s[2:3]
	v_cmp_le_i64_e32 vcc, s[4:5], v[2:3]
	v_cmp_gt_i64_e64 s[0:1], s[4:5], v[2:3]
	v_mov_b64_e32 v[2:3], 0
	v_mov_b64_e32 v[4:5], 0
	s_cbranch_vccz .LBB26_29
; %bb.27:                               ;   in Loop: Header=BB26_16 Depth=1
	s_andn2_b64 vcc, exec, s[0:1]
	s_cbranch_vccz .LBB26_30
.LBB26_28:                              ;   in Loop: Header=BB26_16 Depth=1
	v_lshl_add_u64 v[4:5], v[4:5], 0, v[0:1]
	v_cmp_lt_i64_e32 vcc, v[4:5], v[2:3]
	s_and_saveexec_b64 s[0:1], vcc
	s_cbranch_execz .LBB26_14
	s_branch .LBB26_31
.LBB26_29:                              ;   in Loop: Header=BB26_16 Depth=1
	s_add_u32 s18, s21, s20
	s_addc_u32 s19, 0, 0
	s_lshl_b64 s[18:19], s[18:19], 3
	s_add_u32 s18, s6, s18
	s_addc_u32 s19, s7, s19
	global_load_dwordx2 v[4:5], v8, s[18:19] offset:8
	s_waitcnt vmcnt(0)
	v_subrev_co_u32_e32 v4, vcc, s12, v4
	s_nop 1
	v_subbrev_co_u32_e32 v5, vcc, 0, v5, vcc
	s_andn2_b64 vcc, exec, s[0:1]
	s_cbranch_vccnz .LBB26_28
.LBB26_30:                              ;   in Loop: Header=BB26_16 Depth=1
	s_add_u32 s0, s21, s20
	s_addc_u32 s1, 0, 0
	s_lshl_b64 s[0:1], s[0:1], 3
	s_add_u32 s0, s8, s0
	s_addc_u32 s1, s9, s1
	global_load_dwordx2 v[2:3], v8, s[0:1] offset:8
	s_waitcnt vmcnt(0)
	v_subrev_co_u32_e32 v2, vcc, s12, v2
	s_nop 1
	v_subbrev_co_u32_e32 v3, vcc, 0, v3, vcc
	v_lshl_add_u64 v[4:5], v[4:5], 0, v[0:1]
	v_cmp_lt_i64_e32 vcc, v[4:5], v[2:3]
	s_and_saveexec_b64 s[0:1], vcc
	s_cbranch_execz .LBB26_14
.LBB26_31:                              ;   in Loop: Header=BB26_16 Depth=1
	s_add_u32 s22, s2, s12
	s_addc_u32 s23, 0, 0
	v_lshl_add_u64 v[6:7], v[4:5], 3, s[10:11]
	s_mov_b64 s[18:19], 0
	v_mov_b64_e32 v[10:11], s[22:23]
.LBB26_32:                              ;   Parent Loop BB26_16 Depth=1
                                        ; =>  This Inner Loop Header: Depth=2
	v_lshl_add_u64 v[4:5], v[4:5], 0, s[14:15]
	v_cmp_ge_i64_e32 vcc, v[4:5], v[2:3]
	global_store_dwordx2 v[6:7], v[10:11], off
	s_or_b64 s[18:19], vcc, s[18:19]
	v_lshl_add_u64 v[6:7], v[6:7], 0, s[16:17]
	s_andn2_b64 exec, exec, s[18:19]
	s_cbranch_execnz .LBB26_32
	s_branch .LBB26_14
	.section	.rodata,"a",@progbits
	.p2align	6, 0x0
	.amdhsa_kernel _ZN9rocsparseL14csr2coo_kernelILj256ELj8EllEEvT2_PKT1_S4_PS1_21rocsparse_index_base_
		.amdhsa_group_segment_fixed_size 132
		.amdhsa_private_segment_fixed_size 0
		.amdhsa_kernarg_size 36
		.amdhsa_user_sgpr_count 2
		.amdhsa_user_sgpr_dispatch_ptr 0
		.amdhsa_user_sgpr_queue_ptr 0
		.amdhsa_user_sgpr_kernarg_segment_ptr 1
		.amdhsa_user_sgpr_dispatch_id 0
		.amdhsa_user_sgpr_kernarg_preload_length 0
		.amdhsa_user_sgpr_kernarg_preload_offset 0
		.amdhsa_user_sgpr_private_segment_size 0
		.amdhsa_uses_dynamic_stack 0
		.amdhsa_enable_private_segment 0
		.amdhsa_system_sgpr_workgroup_id_x 1
		.amdhsa_system_sgpr_workgroup_id_y 0
		.amdhsa_system_sgpr_workgroup_id_z 0
		.amdhsa_system_sgpr_workgroup_info 0
		.amdhsa_system_vgpr_workitem_id 0
		.amdhsa_next_free_vgpr 12
		.amdhsa_next_free_sgpr 26
		.amdhsa_accum_offset 12
		.amdhsa_reserve_vcc 1
		.amdhsa_float_round_mode_32 0
		.amdhsa_float_round_mode_16_64 0
		.amdhsa_float_denorm_mode_32 3
		.amdhsa_float_denorm_mode_16_64 3
		.amdhsa_dx10_clamp 1
		.amdhsa_ieee_mode 1
		.amdhsa_fp16_overflow 0
		.amdhsa_tg_split 0
		.amdhsa_exception_fp_ieee_invalid_op 0
		.amdhsa_exception_fp_denorm_src 0
		.amdhsa_exception_fp_ieee_div_zero 0
		.amdhsa_exception_fp_ieee_overflow 0
		.amdhsa_exception_fp_ieee_underflow 0
		.amdhsa_exception_fp_ieee_inexact 0
		.amdhsa_exception_int_div_zero 0
	.end_amdhsa_kernel
	.section	.text._ZN9rocsparseL14csr2coo_kernelILj256ELj8EllEEvT2_PKT1_S4_PS1_21rocsparse_index_base_,"axG",@progbits,_ZN9rocsparseL14csr2coo_kernelILj256ELj8EllEEvT2_PKT1_S4_PS1_21rocsparse_index_base_,comdat
.Lfunc_end26:
	.size	_ZN9rocsparseL14csr2coo_kernelILj256ELj8EllEEvT2_PKT1_S4_PS1_21rocsparse_index_base_, .Lfunc_end26-_ZN9rocsparseL14csr2coo_kernelILj256ELj8EllEEvT2_PKT1_S4_PS1_21rocsparse_index_base_
                                        ; -- End function
	.set _ZN9rocsparseL14csr2coo_kernelILj256ELj8EllEEvT2_PKT1_S4_PS1_21rocsparse_index_base_.num_vgpr, 12
	.set _ZN9rocsparseL14csr2coo_kernelILj256ELj8EllEEvT2_PKT1_S4_PS1_21rocsparse_index_base_.num_agpr, 0
	.set _ZN9rocsparseL14csr2coo_kernelILj256ELj8EllEEvT2_PKT1_S4_PS1_21rocsparse_index_base_.numbered_sgpr, 26
	.set _ZN9rocsparseL14csr2coo_kernelILj256ELj8EllEEvT2_PKT1_S4_PS1_21rocsparse_index_base_.num_named_barrier, 0
	.set _ZN9rocsparseL14csr2coo_kernelILj256ELj8EllEEvT2_PKT1_S4_PS1_21rocsparse_index_base_.private_seg_size, 0
	.set _ZN9rocsparseL14csr2coo_kernelILj256ELj8EllEEvT2_PKT1_S4_PS1_21rocsparse_index_base_.uses_vcc, 1
	.set _ZN9rocsparseL14csr2coo_kernelILj256ELj8EllEEvT2_PKT1_S4_PS1_21rocsparse_index_base_.uses_flat_scratch, 0
	.set _ZN9rocsparseL14csr2coo_kernelILj256ELj8EllEEvT2_PKT1_S4_PS1_21rocsparse_index_base_.has_dyn_sized_stack, 0
	.set _ZN9rocsparseL14csr2coo_kernelILj256ELj8EllEEvT2_PKT1_S4_PS1_21rocsparse_index_base_.has_recursion, 0
	.set _ZN9rocsparseL14csr2coo_kernelILj256ELj8EllEEvT2_PKT1_S4_PS1_21rocsparse_index_base_.has_indirect_call, 0
	.section	.AMDGPU.csdata,"",@progbits
; Kernel info:
; codeLenInByte = 976
; TotalNumSgprs: 32
; NumVgprs: 12
; NumAgprs: 0
; TotalNumVgprs: 12
; ScratchSize: 0
; MemoryBound: 0
; FloatMode: 240
; IeeeMode: 1
; LDSByteSize: 132 bytes/workgroup (compile time only)
; SGPRBlocks: 3
; VGPRBlocks: 1
; NumSGPRsForWavesPerEU: 32
; NumVGPRsForWavesPerEU: 12
; AccumOffset: 12
; Occupancy: 8
; WaveLimiterHint : 0
; COMPUTE_PGM_RSRC2:SCRATCH_EN: 0
; COMPUTE_PGM_RSRC2:USER_SGPR: 2
; COMPUTE_PGM_RSRC2:TRAP_HANDLER: 0
; COMPUTE_PGM_RSRC2:TGID_X_EN: 1
; COMPUTE_PGM_RSRC2:TGID_Y_EN: 0
; COMPUTE_PGM_RSRC2:TGID_Z_EN: 0
; COMPUTE_PGM_RSRC2:TIDIG_COMP_CNT: 0
; COMPUTE_PGM_RSRC3_GFX90A:ACCUM_OFFSET: 2
; COMPUTE_PGM_RSRC3_GFX90A:TG_SPLIT: 0
	.section	.text._ZN9rocsparseL14csr2coo_kernelILj256ELj16EllEEvT2_PKT1_S4_PS1_21rocsparse_index_base_,"axG",@progbits,_ZN9rocsparseL14csr2coo_kernelILj256ELj16EllEEvT2_PKT1_S4_PS1_21rocsparse_index_base_,comdat
	.globl	_ZN9rocsparseL14csr2coo_kernelILj256ELj16EllEEvT2_PKT1_S4_PS1_21rocsparse_index_base_ ; -- Begin function _ZN9rocsparseL14csr2coo_kernelILj256ELj16EllEEvT2_PKT1_S4_PS1_21rocsparse_index_base_
	.p2align	8
	.type	_ZN9rocsparseL14csr2coo_kernelILj256ELj16EllEEvT2_PKT1_S4_PS1_21rocsparse_index_base_,@function
_ZN9rocsparseL14csr2coo_kernelILj256ELj16EllEEvT2_PKT1_S4_PS1_21rocsparse_index_base_: ; @_ZN9rocsparseL14csr2coo_kernelILj256ELj16EllEEvT2_PKT1_S4_PS1_21rocsparse_index_base_
; %bb.0:
	s_load_dwordx8 s[4:11], s[0:1], 0x0
	s_load_dword s12, s[0:1], 0x20
	v_mov_b32_e32 v1, 0
	v_lshrrev_b32_e32 v2, 4, v0
	s_lshl_b32 s2, s2, 4
	v_mov_b32_e32 v3, 1
	v_or_b32_e32 v4, s2, v2
	v_mov_b32_e32 v5, v1
	s_mov_b32 s3, 0
	ds_write_b32 v1, v3 offset:64
	s_waitcnt lgkmcnt(0)
	v_cmp_gt_i64_e32 vcc, s[4:5], v[4:5]
	v_mov_b64_e32 v[2:3], 0
	v_mov_b64_e32 v[6:7], 0
	s_barrier
	s_and_saveexec_b64 s[14:15], vcc
	s_cbranch_execz .LBB27_2
; %bb.1:
	v_lshl_add_u64 v[6:7], v[4:5], 3, s[6:7]
	global_load_dwordx2 v[6:7], v[6:7], off
	s_waitcnt vmcnt(0)
	v_subrev_co_u32_e64 v6, s[0:1], s12, v6
	s_nop 1
	v_subbrev_co_u32_e64 v7, s[0:1], 0, v7, s[0:1]
.LBB27_2:
	s_or_b64 exec, exec, s[14:15]
	s_and_saveexec_b64 s[0:1], vcc
	s_cbranch_execz .LBB27_4
; %bb.3:
	v_lshl_add_u64 v[2:3], v[4:5], 3, s[8:9]
	global_load_dwordx2 v[2:3], v[2:3], off
	s_waitcnt vmcnt(0)
	v_subrev_co_u32_e32 v2, vcc, s12, v2
	s_nop 1
	v_subbrev_co_u32_e32 v3, vcc, 0, v3, vcc
.LBB27_4:
	s_or_b64 exec, exec, s[0:1]
	v_sub_co_u32_e32 v8, vcc, v2, v6
	s_mov_b64 s[0:1], 0x81
	s_nop 0
	v_subb_co_u32_e32 v9, vcc, v3, v7, vcc
	v_cmp_gt_i64_e32 vcc, s[0:1], v[8:9]
	s_mov_b64 s[0:1], 0x80
	v_cmp_lt_i64_e64 s[0:1], s[0:1], v[8:9]
	s_and_saveexec_b64 s[14:15], s[0:1]
	s_xor_b64 s[0:1], exec, s[14:15]
; %bb.5:
	v_mov_b32_e32 v2, 0
	ds_write_b32 v2, v2 offset:64
                                        ; implicit-def: $vgpr6_vgpr7
                                        ; implicit-def: $vgpr2_vgpr3
                                        ; implicit-def: $vgpr4_vgpr5
; %bb.6:
	s_andn2_saveexec_b64 s[14:15], s[0:1]
	s_cbranch_execz .LBB27_11
; %bb.7:
	v_and_b32_e32 v8, 15, v0
	v_mov_b32_e32 v9, 0
	v_lshl_add_u64 v[6:7], v[6:7], 0, v[8:9]
	v_cmp_lt_i64_e64 s[0:1], v[6:7], v[2:3]
	s_and_saveexec_b64 s[16:17], s[0:1]
	s_cbranch_execz .LBB27_10
; %bb.8:
	s_mov_b32 s13, 0
	v_lshl_add_u64 v[4:5], v[4:5], 0, s[12:13]
	v_lshl_add_u64 v[8:9], v[6:7], 3, s[10:11]
	s_mov_b64 s[18:19], 0
	s_mov_b64 s[20:21], 0x80
.LBB27_9:                               ; =>This Inner Loop Header: Depth=1
	v_lshl_add_u64 v[6:7], v[6:7], 0, 16
	v_cmp_ge_i64_e64 s[0:1], v[6:7], v[2:3]
	global_store_dwordx2 v[8:9], v[4:5], off
	s_or_b64 s[18:19], s[0:1], s[18:19]
	v_lshl_add_u64 v[8:9], v[8:9], 0, s[20:21]
	s_andn2_b64 exec, exec, s[18:19]
	s_cbranch_execnz .LBB27_9
.LBB27_10:
	s_or_b64 exec, exec, s[16:17]
.LBB27_11:
	s_or_b64 exec, exec, s[14:15]
	v_lshrrev_b32_e32 v3, 2, v0
	v_cndmask_b32_e64 v2, 0, 1, vcc
	v_and_b32_e32 v3, 60, v3
	ds_write_b32 v3, v2
	v_mov_b32_e32 v2, 0
	s_waitcnt lgkmcnt(0)
	s_barrier
	ds_read_b32 v3, v2 offset:64
	s_waitcnt lgkmcnt(0)
	v_cmp_ne_u32_e32 vcc, 0, v3
	s_cbranch_vccnz .LBB27_155
; %bb.12:
	ds_read_b32 v2, v2
	s_waitcnt lgkmcnt(0)
	v_cmp_ne_u32_e32 vcc, 0, v2
	s_cbranch_vccnz .LBB27_21
; %bb.13:
	v_mov_b64_e32 v[2:3], s[2:3]
	v_cmp_le_i64_e32 vcc, s[4:5], v[2:3]
	v_cmp_gt_i64_e64 s[0:1], s[4:5], v[2:3]
	v_mov_b64_e32 v[2:3], 0
	v_mov_b64_e32 v[4:5], 0
	s_cbranch_vccz .LBB27_16
; %bb.14:
	s_andn2_b64 vcc, exec, s[0:1]
	s_cbranch_vccz .LBB27_17
.LBB27_15:
	v_lshl_add_u64 v[4:5], v[4:5], 0, v[0:1]
	v_cmp_lt_i64_e32 vcc, v[4:5], v[2:3]
	s_and_saveexec_b64 s[0:1], vcc
	s_cbranch_execnz .LBB27_18
	s_branch .LBB27_20
.LBB27_16:
	s_lshl_b64 s[14:15], s[2:3], 3
	s_add_u32 s14, s6, s14
	s_addc_u32 s15, s7, s15
	v_mov_b32_e32 v4, 0
	global_load_dwordx2 v[4:5], v4, s[14:15]
	s_waitcnt vmcnt(0)
	v_subrev_co_u32_e32 v4, vcc, s12, v4
	s_nop 1
	v_subbrev_co_u32_e32 v5, vcc, 0, v5, vcc
	s_andn2_b64 vcc, exec, s[0:1]
	s_cbranch_vccnz .LBB27_15
.LBB27_17:
	s_lshl_b64 s[0:1], s[2:3], 3
	s_add_u32 s0, s8, s0
	s_addc_u32 s1, s9, s1
	v_mov_b32_e32 v2, 0
	global_load_dwordx2 v[2:3], v2, s[0:1]
	s_waitcnt vmcnt(0)
	v_subrev_co_u32_e32 v2, vcc, s12, v2
	s_nop 1
	v_subbrev_co_u32_e32 v3, vcc, 0, v3, vcc
	v_lshl_add_u64 v[4:5], v[4:5], 0, v[0:1]
	v_cmp_lt_i64_e32 vcc, v[4:5], v[2:3]
	s_and_saveexec_b64 s[0:1], vcc
	s_cbranch_execz .LBB27_20
.LBB27_18:
	s_add_u32 s16, s2, s12
	s_addc_u32 s17, 0, 0
	v_lshl_add_u64 v[6:7], v[4:5], 3, s[10:11]
	s_mov_b64 s[14:15], 0
	v_mov_b64_e32 v[8:9], s[16:17]
	s_mov_b64 s[16:17], 0x100
	s_mov_b64 s[18:19], 0x800
.LBB27_19:                              ; =>This Inner Loop Header: Depth=1
	v_lshl_add_u64 v[4:5], v[4:5], 0, s[16:17]
	v_cmp_ge_i64_e32 vcc, v[4:5], v[2:3]
	global_store_dwordx2 v[6:7], v[8:9], off
	s_or_b64 s[14:15], vcc, s[14:15]
	v_lshl_add_u64 v[6:7], v[6:7], 0, s[18:19]
	s_andn2_b64 exec, exec, s[14:15]
	s_cbranch_execnz .LBB27_19
.LBB27_20:
	s_or_b64 exec, exec, s[0:1]
.LBB27_21:
	v_mov_b32_e32 v8, 0
	ds_read_b32 v2, v8 offset:4
	s_mov_b32 s15, 0
	s_waitcnt lgkmcnt(0)
	v_cmp_ne_u32_e32 vcc, 0, v2
	s_cbranch_vccz .LBB27_23
; %bb.22:
	ds_read_b32 v2, v8 offset:8
	s_waitcnt lgkmcnt(0)
	v_cmp_ne_u32_e32 vcc, 0, v2
	s_cbranch_vccnz .LBB27_39
	s_branch .LBB27_31
.LBB27_23:
	s_or_b32 s14, s2, 1
	v_mov_b64_e32 v[2:3], s[14:15]
	v_cmp_le_i64_e32 vcc, s[4:5], v[2:3]
	v_cmp_gt_i64_e64 s[0:1], s[4:5], v[2:3]
	v_mov_b64_e32 v[2:3], 0
	v_mov_b64_e32 v[4:5], 0
	s_cbranch_vccz .LBB27_26
; %bb.24:
	s_andn2_b64 vcc, exec, s[0:1]
	s_cbranch_vccz .LBB27_27
.LBB27_25:
	v_lshl_add_u64 v[4:5], v[4:5], 0, v[0:1]
	v_cmp_lt_i64_e32 vcc, v[4:5], v[2:3]
	s_and_saveexec_b64 s[0:1], vcc
	s_cbranch_execnz .LBB27_28
	s_branch .LBB27_30
.LBB27_26:
	s_lshl_b64 s[16:17], s[2:3], 3
	s_add_u32 s16, s6, s16
	s_addc_u32 s17, s7, s17
	v_mov_b32_e32 v4, 0
	global_load_dwordx2 v[4:5], v4, s[16:17] offset:8
	s_waitcnt vmcnt(0)
	v_subrev_co_u32_e32 v4, vcc, s12, v4
	s_nop 1
	v_subbrev_co_u32_e32 v5, vcc, 0, v5, vcc
	s_andn2_b64 vcc, exec, s[0:1]
	s_cbranch_vccnz .LBB27_25
.LBB27_27:
	s_lshl_b64 s[0:1], s[2:3], 3
	s_add_u32 s0, s8, s0
	s_addc_u32 s1, s9, s1
	v_mov_b32_e32 v2, 0
	global_load_dwordx2 v[2:3], v2, s[0:1] offset:8
	s_waitcnt vmcnt(0)
	v_subrev_co_u32_e32 v2, vcc, s12, v2
	s_nop 1
	v_subbrev_co_u32_e32 v3, vcc, 0, v3, vcc
	v_lshl_add_u64 v[4:5], v[4:5], 0, v[0:1]
	v_cmp_lt_i64_e32 vcc, v[4:5], v[2:3]
	s_and_saveexec_b64 s[0:1], vcc
	s_cbranch_execz .LBB27_30
.LBB27_28:
	s_add_u32 s16, s14, s12
	s_addc_u32 s17, 0, 0
	v_lshl_add_u64 v[6:7], v[4:5], 3, s[10:11]
	s_mov_b64 s[14:15], 0
	v_mov_b64_e32 v[10:11], s[16:17]
	s_mov_b64 s[16:17], 0x100
	s_mov_b64 s[18:19], 0x800
.LBB27_29:                              ; =>This Inner Loop Header: Depth=1
	v_lshl_add_u64 v[4:5], v[4:5], 0, s[16:17]
	v_cmp_ge_i64_e32 vcc, v[4:5], v[2:3]
	global_store_dwordx2 v[6:7], v[10:11], off
	s_or_b64 s[14:15], vcc, s[14:15]
	v_lshl_add_u64 v[6:7], v[6:7], 0, s[18:19]
	s_andn2_b64 exec, exec, s[14:15]
	s_cbranch_execnz .LBB27_29
.LBB27_30:
	s_or_b64 exec, exec, s[0:1]
	ds_read_b32 v2, v8 offset:8
	s_waitcnt lgkmcnt(0)
	v_cmp_ne_u32_e32 vcc, 0, v2
	s_cbranch_vccnz .LBB27_39
.LBB27_31:
	s_or_b32 s14, s2, 2
	s_mov_b32 s15, 0
	v_mov_b64_e32 v[2:3], s[14:15]
	v_cmp_le_i64_e32 vcc, s[4:5], v[2:3]
	v_cmp_gt_i64_e64 s[0:1], s[4:5], v[2:3]
	v_mov_b64_e32 v[2:3], 0
	v_mov_b64_e32 v[4:5], 0
	s_cbranch_vccz .LBB27_34
; %bb.32:
	s_andn2_b64 vcc, exec, s[0:1]
	s_cbranch_vccz .LBB27_35
.LBB27_33:
	v_lshl_add_u64 v[4:5], v[4:5], 0, v[0:1]
	v_cmp_lt_i64_e32 vcc, v[4:5], v[2:3]
	s_and_saveexec_b64 s[0:1], vcc
	s_cbranch_execnz .LBB27_36
	s_branch .LBB27_38
.LBB27_34:
	s_lshl_b64 s[16:17], s[2:3], 3
	s_add_u32 s16, s6, s16
	s_addc_u32 s17, s7, s17
	v_mov_b32_e32 v4, 0
	global_load_dwordx2 v[4:5], v4, s[16:17] offset:16
	s_waitcnt vmcnt(0)
	v_subrev_co_u32_e32 v4, vcc, s12, v4
	s_nop 1
	v_subbrev_co_u32_e32 v5, vcc, 0, v5, vcc
	s_andn2_b64 vcc, exec, s[0:1]
	s_cbranch_vccnz .LBB27_33
.LBB27_35:
	s_lshl_b64 s[0:1], s[2:3], 3
	s_add_u32 s0, s8, s0
	s_addc_u32 s1, s9, s1
	v_mov_b32_e32 v2, 0
	global_load_dwordx2 v[2:3], v2, s[0:1] offset:16
	s_waitcnt vmcnt(0)
	v_subrev_co_u32_e32 v2, vcc, s12, v2
	s_nop 1
	v_subbrev_co_u32_e32 v3, vcc, 0, v3, vcc
	v_lshl_add_u64 v[4:5], v[4:5], 0, v[0:1]
	v_cmp_lt_i64_e32 vcc, v[4:5], v[2:3]
	s_and_saveexec_b64 s[0:1], vcc
	s_cbranch_execz .LBB27_38
.LBB27_36:
	s_add_u32 s16, s14, s12
	s_addc_u32 s17, 0, 0
	v_lshl_add_u64 v[6:7], v[4:5], 3, s[10:11]
	s_mov_b64 s[14:15], 0
	v_mov_b64_e32 v[8:9], s[16:17]
	s_mov_b64 s[16:17], 0x100
	s_mov_b64 s[18:19], 0x800
.LBB27_37:                              ; =>This Inner Loop Header: Depth=1
	v_lshl_add_u64 v[4:5], v[4:5], 0, s[16:17]
	v_cmp_ge_i64_e32 vcc, v[4:5], v[2:3]
	global_store_dwordx2 v[6:7], v[8:9], off
	s_or_b64 s[14:15], vcc, s[14:15]
	v_lshl_add_u64 v[6:7], v[6:7], 0, s[18:19]
	s_andn2_b64 exec, exec, s[14:15]
	s_cbranch_execnz .LBB27_37
.LBB27_38:
	s_or_b64 exec, exec, s[0:1]
.LBB27_39:
	v_mov_b32_e32 v8, 0
	ds_read_b32 v2, v8 offset:12
	s_mov_b32 s15, 0
	s_waitcnt lgkmcnt(0)
	v_cmp_ne_u32_e32 vcc, 0, v2
	s_cbranch_vccz .LBB27_41
; %bb.40:
	ds_read_b32 v2, v8 offset:16
	s_waitcnt lgkmcnt(0)
	v_cmp_ne_u32_e32 vcc, 0, v2
	s_cbranch_vccnz .LBB27_57
	s_branch .LBB27_49
.LBB27_41:
	s_or_b32 s14, s2, 3
	v_mov_b64_e32 v[2:3], s[14:15]
	v_cmp_le_i64_e32 vcc, s[4:5], v[2:3]
	v_cmp_gt_i64_e64 s[0:1], s[4:5], v[2:3]
	v_mov_b64_e32 v[2:3], 0
	v_mov_b64_e32 v[4:5], 0
	s_cbranch_vccz .LBB27_44
; %bb.42:
	s_andn2_b64 vcc, exec, s[0:1]
	s_cbranch_vccz .LBB27_45
.LBB27_43:
	v_lshl_add_u64 v[4:5], v[4:5], 0, v[0:1]
	v_cmp_lt_i64_e32 vcc, v[4:5], v[2:3]
	s_and_saveexec_b64 s[0:1], vcc
	s_cbranch_execnz .LBB27_46
	s_branch .LBB27_48
.LBB27_44:
	s_lshl_b64 s[16:17], s[2:3], 3
	s_add_u32 s16, s6, s16
	s_addc_u32 s17, s7, s17
	v_mov_b32_e32 v4, 0
	global_load_dwordx2 v[4:5], v4, s[16:17] offset:24
	s_waitcnt vmcnt(0)
	v_subrev_co_u32_e32 v4, vcc, s12, v4
	s_nop 1
	v_subbrev_co_u32_e32 v5, vcc, 0, v5, vcc
	s_andn2_b64 vcc, exec, s[0:1]
	s_cbranch_vccnz .LBB27_43
.LBB27_45:
	s_lshl_b64 s[0:1], s[2:3], 3
	s_add_u32 s0, s8, s0
	s_addc_u32 s1, s9, s1
	v_mov_b32_e32 v2, 0
	global_load_dwordx2 v[2:3], v2, s[0:1] offset:24
	s_waitcnt vmcnt(0)
	v_subrev_co_u32_e32 v2, vcc, s12, v2
	s_nop 1
	v_subbrev_co_u32_e32 v3, vcc, 0, v3, vcc
	v_lshl_add_u64 v[4:5], v[4:5], 0, v[0:1]
	v_cmp_lt_i64_e32 vcc, v[4:5], v[2:3]
	s_and_saveexec_b64 s[0:1], vcc
	s_cbranch_execz .LBB27_48
.LBB27_46:
	s_add_u32 s16, s14, s12
	s_addc_u32 s17, 0, 0
	v_lshl_add_u64 v[6:7], v[4:5], 3, s[10:11]
	s_mov_b64 s[14:15], 0
	v_mov_b64_e32 v[10:11], s[16:17]
	s_mov_b64 s[16:17], 0x100
	s_mov_b64 s[18:19], 0x800
.LBB27_47:                              ; =>This Inner Loop Header: Depth=1
	v_lshl_add_u64 v[4:5], v[4:5], 0, s[16:17]
	v_cmp_ge_i64_e32 vcc, v[4:5], v[2:3]
	global_store_dwordx2 v[6:7], v[10:11], off
	s_or_b64 s[14:15], vcc, s[14:15]
	v_lshl_add_u64 v[6:7], v[6:7], 0, s[18:19]
	s_andn2_b64 exec, exec, s[14:15]
	s_cbranch_execnz .LBB27_47
.LBB27_48:
	s_or_b64 exec, exec, s[0:1]
	ds_read_b32 v2, v8 offset:16
	s_waitcnt lgkmcnt(0)
	v_cmp_ne_u32_e32 vcc, 0, v2
	s_cbranch_vccnz .LBB27_57
.LBB27_49:
	s_or_b32 s14, s2, 4
	s_mov_b32 s15, 0
	v_mov_b64_e32 v[2:3], s[14:15]
	v_cmp_le_i64_e32 vcc, s[4:5], v[2:3]
	v_cmp_gt_i64_e64 s[0:1], s[4:5], v[2:3]
	v_mov_b64_e32 v[2:3], 0
	v_mov_b64_e32 v[4:5], 0
	s_cbranch_vccz .LBB27_52
; %bb.50:
	s_andn2_b64 vcc, exec, s[0:1]
	s_cbranch_vccz .LBB27_53
.LBB27_51:
	v_lshl_add_u64 v[4:5], v[4:5], 0, v[0:1]
	v_cmp_lt_i64_e32 vcc, v[4:5], v[2:3]
	s_and_saveexec_b64 s[0:1], vcc
	s_cbranch_execnz .LBB27_54
	s_branch .LBB27_56
.LBB27_52:
	s_lshl_b64 s[16:17], s[2:3], 3
	s_add_u32 s16, s6, s16
	s_addc_u32 s17, s7, s17
	v_mov_b32_e32 v4, 0
	global_load_dwordx2 v[4:5], v4, s[16:17] offset:32
	s_waitcnt vmcnt(0)
	v_subrev_co_u32_e32 v4, vcc, s12, v4
	s_nop 1
	v_subbrev_co_u32_e32 v5, vcc, 0, v5, vcc
	s_andn2_b64 vcc, exec, s[0:1]
	s_cbranch_vccnz .LBB27_51
.LBB27_53:
	s_lshl_b64 s[0:1], s[2:3], 3
	s_add_u32 s0, s8, s0
	s_addc_u32 s1, s9, s1
	v_mov_b32_e32 v2, 0
	global_load_dwordx2 v[2:3], v2, s[0:1] offset:32
	s_waitcnt vmcnt(0)
	v_subrev_co_u32_e32 v2, vcc, s12, v2
	s_nop 1
	v_subbrev_co_u32_e32 v3, vcc, 0, v3, vcc
	v_lshl_add_u64 v[4:5], v[4:5], 0, v[0:1]
	v_cmp_lt_i64_e32 vcc, v[4:5], v[2:3]
	s_and_saveexec_b64 s[0:1], vcc
	s_cbranch_execz .LBB27_56
.LBB27_54:
	s_add_u32 s16, s14, s12
	s_addc_u32 s17, 0, 0
	v_lshl_add_u64 v[6:7], v[4:5], 3, s[10:11]
	s_mov_b64 s[14:15], 0
	v_mov_b64_e32 v[8:9], s[16:17]
	s_mov_b64 s[16:17], 0x100
	s_mov_b64 s[18:19], 0x800
.LBB27_55:                              ; =>This Inner Loop Header: Depth=1
	v_lshl_add_u64 v[4:5], v[4:5], 0, s[16:17]
	v_cmp_ge_i64_e32 vcc, v[4:5], v[2:3]
	global_store_dwordx2 v[6:7], v[8:9], off
	s_or_b64 s[14:15], vcc, s[14:15]
	v_lshl_add_u64 v[6:7], v[6:7], 0, s[18:19]
	s_andn2_b64 exec, exec, s[14:15]
	s_cbranch_execnz .LBB27_55
.LBB27_56:
	s_or_b64 exec, exec, s[0:1]
.LBB27_57:
	v_mov_b32_e32 v8, 0
	ds_read_b32 v2, v8 offset:20
	s_mov_b32 s15, 0
	s_waitcnt lgkmcnt(0)
	v_cmp_ne_u32_e32 vcc, 0, v2
	s_cbranch_vccz .LBB27_59
; %bb.58:
	ds_read_b32 v2, v8 offset:24
	s_waitcnt lgkmcnt(0)
	v_cmp_ne_u32_e32 vcc, 0, v2
	s_cbranch_vccnz .LBB27_75
	s_branch .LBB27_67
.LBB27_59:
	s_or_b32 s14, s2, 5
	v_mov_b64_e32 v[2:3], s[14:15]
	v_cmp_le_i64_e32 vcc, s[4:5], v[2:3]
	v_cmp_gt_i64_e64 s[0:1], s[4:5], v[2:3]
	v_mov_b64_e32 v[2:3], 0
	v_mov_b64_e32 v[4:5], 0
	s_cbranch_vccz .LBB27_62
; %bb.60:
	s_andn2_b64 vcc, exec, s[0:1]
	s_cbranch_vccz .LBB27_63
.LBB27_61:
	v_lshl_add_u64 v[4:5], v[4:5], 0, v[0:1]
	v_cmp_lt_i64_e32 vcc, v[4:5], v[2:3]
	s_and_saveexec_b64 s[0:1], vcc
	s_cbranch_execnz .LBB27_64
	s_branch .LBB27_66
.LBB27_62:
	s_lshl_b64 s[16:17], s[2:3], 3
	s_add_u32 s16, s6, s16
	s_addc_u32 s17, s7, s17
	v_mov_b32_e32 v4, 0
	global_load_dwordx2 v[4:5], v4, s[16:17] offset:40
	s_waitcnt vmcnt(0)
	v_subrev_co_u32_e32 v4, vcc, s12, v4
	s_nop 1
	v_subbrev_co_u32_e32 v5, vcc, 0, v5, vcc
	s_andn2_b64 vcc, exec, s[0:1]
	s_cbranch_vccnz .LBB27_61
.LBB27_63:
	s_lshl_b64 s[0:1], s[2:3], 3
	s_add_u32 s0, s8, s0
	s_addc_u32 s1, s9, s1
	v_mov_b32_e32 v2, 0
	global_load_dwordx2 v[2:3], v2, s[0:1] offset:40
	s_waitcnt vmcnt(0)
	v_subrev_co_u32_e32 v2, vcc, s12, v2
	s_nop 1
	v_subbrev_co_u32_e32 v3, vcc, 0, v3, vcc
	v_lshl_add_u64 v[4:5], v[4:5], 0, v[0:1]
	v_cmp_lt_i64_e32 vcc, v[4:5], v[2:3]
	s_and_saveexec_b64 s[0:1], vcc
	s_cbranch_execz .LBB27_66
.LBB27_64:
	s_add_u32 s16, s14, s12
	s_addc_u32 s17, 0, 0
	v_lshl_add_u64 v[6:7], v[4:5], 3, s[10:11]
	s_mov_b64 s[14:15], 0
	v_mov_b64_e32 v[10:11], s[16:17]
	s_mov_b64 s[16:17], 0x100
	s_mov_b64 s[18:19], 0x800
.LBB27_65:                              ; =>This Inner Loop Header: Depth=1
	v_lshl_add_u64 v[4:5], v[4:5], 0, s[16:17]
	v_cmp_ge_i64_e32 vcc, v[4:5], v[2:3]
	global_store_dwordx2 v[6:7], v[10:11], off
	s_or_b64 s[14:15], vcc, s[14:15]
	v_lshl_add_u64 v[6:7], v[6:7], 0, s[18:19]
	s_andn2_b64 exec, exec, s[14:15]
	s_cbranch_execnz .LBB27_65
.LBB27_66:
	s_or_b64 exec, exec, s[0:1]
	ds_read_b32 v2, v8 offset:24
	s_waitcnt lgkmcnt(0)
	v_cmp_ne_u32_e32 vcc, 0, v2
	s_cbranch_vccnz .LBB27_75
.LBB27_67:
	s_or_b32 s14, s2, 6
	s_mov_b32 s15, 0
	v_mov_b64_e32 v[2:3], s[14:15]
	v_cmp_le_i64_e32 vcc, s[4:5], v[2:3]
	v_cmp_gt_i64_e64 s[0:1], s[4:5], v[2:3]
	v_mov_b64_e32 v[2:3], 0
	v_mov_b64_e32 v[4:5], 0
	s_cbranch_vccz .LBB27_70
; %bb.68:
	s_andn2_b64 vcc, exec, s[0:1]
	s_cbranch_vccz .LBB27_71
.LBB27_69:
	v_lshl_add_u64 v[4:5], v[4:5], 0, v[0:1]
	v_cmp_lt_i64_e32 vcc, v[4:5], v[2:3]
	s_and_saveexec_b64 s[0:1], vcc
	s_cbranch_execnz .LBB27_72
	s_branch .LBB27_74
.LBB27_70:
	s_lshl_b64 s[16:17], s[2:3], 3
	s_add_u32 s16, s6, s16
	s_addc_u32 s17, s7, s17
	v_mov_b32_e32 v4, 0
	global_load_dwordx2 v[4:5], v4, s[16:17] offset:48
	s_waitcnt vmcnt(0)
	v_subrev_co_u32_e32 v4, vcc, s12, v4
	s_nop 1
	v_subbrev_co_u32_e32 v5, vcc, 0, v5, vcc
	s_andn2_b64 vcc, exec, s[0:1]
	s_cbranch_vccnz .LBB27_69
.LBB27_71:
	s_lshl_b64 s[0:1], s[2:3], 3
	s_add_u32 s0, s8, s0
	s_addc_u32 s1, s9, s1
	v_mov_b32_e32 v2, 0
	global_load_dwordx2 v[2:3], v2, s[0:1] offset:48
	s_waitcnt vmcnt(0)
	v_subrev_co_u32_e32 v2, vcc, s12, v2
	s_nop 1
	v_subbrev_co_u32_e32 v3, vcc, 0, v3, vcc
	v_lshl_add_u64 v[4:5], v[4:5], 0, v[0:1]
	v_cmp_lt_i64_e32 vcc, v[4:5], v[2:3]
	s_and_saveexec_b64 s[0:1], vcc
	s_cbranch_execz .LBB27_74
.LBB27_72:
	s_add_u32 s16, s14, s12
	s_addc_u32 s17, 0, 0
	v_lshl_add_u64 v[6:7], v[4:5], 3, s[10:11]
	s_mov_b64 s[14:15], 0
	v_mov_b64_e32 v[8:9], s[16:17]
	s_mov_b64 s[16:17], 0x100
	s_mov_b64 s[18:19], 0x800
.LBB27_73:                              ; =>This Inner Loop Header: Depth=1
	v_lshl_add_u64 v[4:5], v[4:5], 0, s[16:17]
	v_cmp_ge_i64_e32 vcc, v[4:5], v[2:3]
	global_store_dwordx2 v[6:7], v[8:9], off
	s_or_b64 s[14:15], vcc, s[14:15]
	v_lshl_add_u64 v[6:7], v[6:7], 0, s[18:19]
	s_andn2_b64 exec, exec, s[14:15]
	s_cbranch_execnz .LBB27_73
.LBB27_74:
	s_or_b64 exec, exec, s[0:1]
.LBB27_75:
	v_mov_b32_e32 v8, 0
	ds_read_b32 v2, v8 offset:28
	s_mov_b32 s15, 0
	s_waitcnt lgkmcnt(0)
	v_cmp_ne_u32_e32 vcc, 0, v2
	s_cbranch_vccz .LBB27_77
; %bb.76:
	ds_read_b32 v2, v8 offset:32
	s_waitcnt lgkmcnt(0)
	v_cmp_ne_u32_e32 vcc, 0, v2
	s_cbranch_vccnz .LBB27_93
	s_branch .LBB27_85
.LBB27_77:
	s_or_b32 s14, s2, 7
	v_mov_b64_e32 v[2:3], s[14:15]
	v_cmp_le_i64_e32 vcc, s[4:5], v[2:3]
	v_cmp_gt_i64_e64 s[0:1], s[4:5], v[2:3]
	v_mov_b64_e32 v[2:3], 0
	v_mov_b64_e32 v[4:5], 0
	s_cbranch_vccz .LBB27_80
; %bb.78:
	s_andn2_b64 vcc, exec, s[0:1]
	s_cbranch_vccz .LBB27_81
.LBB27_79:
	v_lshl_add_u64 v[4:5], v[4:5], 0, v[0:1]
	v_cmp_lt_i64_e32 vcc, v[4:5], v[2:3]
	s_and_saveexec_b64 s[0:1], vcc
	s_cbranch_execnz .LBB27_82
	s_branch .LBB27_84
.LBB27_80:
	s_lshl_b64 s[16:17], s[2:3], 3
	s_add_u32 s16, s6, s16
	s_addc_u32 s17, s7, s17
	v_mov_b32_e32 v4, 0
	global_load_dwordx2 v[4:5], v4, s[16:17] offset:56
	s_waitcnt vmcnt(0)
	v_subrev_co_u32_e32 v4, vcc, s12, v4
	s_nop 1
	v_subbrev_co_u32_e32 v5, vcc, 0, v5, vcc
	s_andn2_b64 vcc, exec, s[0:1]
	s_cbranch_vccnz .LBB27_79
.LBB27_81:
	s_lshl_b64 s[0:1], s[2:3], 3
	s_add_u32 s0, s8, s0
	s_addc_u32 s1, s9, s1
	v_mov_b32_e32 v2, 0
	global_load_dwordx2 v[2:3], v2, s[0:1] offset:56
	s_waitcnt vmcnt(0)
	v_subrev_co_u32_e32 v2, vcc, s12, v2
	s_nop 1
	v_subbrev_co_u32_e32 v3, vcc, 0, v3, vcc
	v_lshl_add_u64 v[4:5], v[4:5], 0, v[0:1]
	v_cmp_lt_i64_e32 vcc, v[4:5], v[2:3]
	s_and_saveexec_b64 s[0:1], vcc
	s_cbranch_execz .LBB27_84
.LBB27_82:
	s_add_u32 s16, s14, s12
	s_addc_u32 s17, 0, 0
	v_lshl_add_u64 v[6:7], v[4:5], 3, s[10:11]
	s_mov_b64 s[14:15], 0
	v_mov_b64_e32 v[10:11], s[16:17]
	s_mov_b64 s[16:17], 0x100
	s_mov_b64 s[18:19], 0x800
.LBB27_83:                              ; =>This Inner Loop Header: Depth=1
	v_lshl_add_u64 v[4:5], v[4:5], 0, s[16:17]
	v_cmp_ge_i64_e32 vcc, v[4:5], v[2:3]
	global_store_dwordx2 v[6:7], v[10:11], off
	s_or_b64 s[14:15], vcc, s[14:15]
	v_lshl_add_u64 v[6:7], v[6:7], 0, s[18:19]
	s_andn2_b64 exec, exec, s[14:15]
	s_cbranch_execnz .LBB27_83
.LBB27_84:
	s_or_b64 exec, exec, s[0:1]
	ds_read_b32 v2, v8 offset:32
	s_waitcnt lgkmcnt(0)
	v_cmp_ne_u32_e32 vcc, 0, v2
	s_cbranch_vccnz .LBB27_93
.LBB27_85:
	s_or_b32 s14, s2, 8
	s_mov_b32 s15, 0
	v_mov_b64_e32 v[2:3], s[14:15]
	v_cmp_le_i64_e32 vcc, s[4:5], v[2:3]
	v_cmp_gt_i64_e64 s[0:1], s[4:5], v[2:3]
	v_mov_b64_e32 v[2:3], 0
	v_mov_b64_e32 v[4:5], 0
	s_cbranch_vccz .LBB27_88
; %bb.86:
	s_andn2_b64 vcc, exec, s[0:1]
	s_cbranch_vccz .LBB27_89
.LBB27_87:
	v_lshl_add_u64 v[4:5], v[4:5], 0, v[0:1]
	v_cmp_lt_i64_e32 vcc, v[4:5], v[2:3]
	s_and_saveexec_b64 s[0:1], vcc
	s_cbranch_execnz .LBB27_90
	s_branch .LBB27_92
.LBB27_88:
	s_lshl_b64 s[16:17], s[2:3], 3
	s_add_u32 s16, s6, s16
	s_addc_u32 s17, s7, s17
	v_mov_b32_e32 v4, 0
	global_load_dwordx2 v[4:5], v4, s[16:17] offset:64
	s_waitcnt vmcnt(0)
	v_subrev_co_u32_e32 v4, vcc, s12, v4
	s_nop 1
	v_subbrev_co_u32_e32 v5, vcc, 0, v5, vcc
	s_andn2_b64 vcc, exec, s[0:1]
	s_cbranch_vccnz .LBB27_87
.LBB27_89:
	s_lshl_b64 s[0:1], s[2:3], 3
	s_add_u32 s0, s8, s0
	s_addc_u32 s1, s9, s1
	v_mov_b32_e32 v2, 0
	global_load_dwordx2 v[2:3], v2, s[0:1] offset:64
	s_waitcnt vmcnt(0)
	v_subrev_co_u32_e32 v2, vcc, s12, v2
	s_nop 1
	v_subbrev_co_u32_e32 v3, vcc, 0, v3, vcc
	v_lshl_add_u64 v[4:5], v[4:5], 0, v[0:1]
	v_cmp_lt_i64_e32 vcc, v[4:5], v[2:3]
	s_and_saveexec_b64 s[0:1], vcc
	s_cbranch_execz .LBB27_92
.LBB27_90:
	s_add_u32 s16, s14, s12
	s_addc_u32 s17, 0, 0
	v_lshl_add_u64 v[6:7], v[4:5], 3, s[10:11]
	s_mov_b64 s[14:15], 0
	v_mov_b64_e32 v[8:9], s[16:17]
	s_mov_b64 s[16:17], 0x100
	s_mov_b64 s[18:19], 0x800
.LBB27_91:                              ; =>This Inner Loop Header: Depth=1
	v_lshl_add_u64 v[4:5], v[4:5], 0, s[16:17]
	v_cmp_ge_i64_e32 vcc, v[4:5], v[2:3]
	global_store_dwordx2 v[6:7], v[8:9], off
	s_or_b64 s[14:15], vcc, s[14:15]
	v_lshl_add_u64 v[6:7], v[6:7], 0, s[18:19]
	s_andn2_b64 exec, exec, s[14:15]
	s_cbranch_execnz .LBB27_91
.LBB27_92:
	s_or_b64 exec, exec, s[0:1]
.LBB27_93:
	v_mov_b32_e32 v8, 0
	ds_read_b32 v2, v8 offset:36
	s_mov_b32 s15, 0
	s_waitcnt lgkmcnt(0)
	v_cmp_ne_u32_e32 vcc, 0, v2
	s_cbranch_vccz .LBB27_95
; %bb.94:
	ds_read_b32 v2, v8 offset:40
	s_waitcnt lgkmcnt(0)
	v_cmp_ne_u32_e32 vcc, 0, v2
	s_cbranch_vccnz .LBB27_111
	s_branch .LBB27_103
.LBB27_95:
	s_or_b32 s14, s2, 9
	v_mov_b64_e32 v[2:3], s[14:15]
	v_cmp_le_i64_e32 vcc, s[4:5], v[2:3]
	v_cmp_gt_i64_e64 s[0:1], s[4:5], v[2:3]
	v_mov_b64_e32 v[2:3], 0
	v_mov_b64_e32 v[4:5], 0
	s_cbranch_vccz .LBB27_98
; %bb.96:
	s_andn2_b64 vcc, exec, s[0:1]
	s_cbranch_vccz .LBB27_99
.LBB27_97:
	v_lshl_add_u64 v[4:5], v[4:5], 0, v[0:1]
	v_cmp_lt_i64_e32 vcc, v[4:5], v[2:3]
	s_and_saveexec_b64 s[0:1], vcc
	s_cbranch_execnz .LBB27_100
	s_branch .LBB27_102
.LBB27_98:
	s_lshl_b64 s[16:17], s[2:3], 3
	s_add_u32 s16, s6, s16
	s_addc_u32 s17, s7, s17
	v_mov_b32_e32 v4, 0
	global_load_dwordx2 v[4:5], v4, s[16:17] offset:72
	s_waitcnt vmcnt(0)
	v_subrev_co_u32_e32 v4, vcc, s12, v4
	s_nop 1
	v_subbrev_co_u32_e32 v5, vcc, 0, v5, vcc
	s_andn2_b64 vcc, exec, s[0:1]
	s_cbranch_vccnz .LBB27_97
.LBB27_99:
	s_lshl_b64 s[0:1], s[2:3], 3
	s_add_u32 s0, s8, s0
	s_addc_u32 s1, s9, s1
	v_mov_b32_e32 v2, 0
	global_load_dwordx2 v[2:3], v2, s[0:1] offset:72
	s_waitcnt vmcnt(0)
	v_subrev_co_u32_e32 v2, vcc, s12, v2
	s_nop 1
	v_subbrev_co_u32_e32 v3, vcc, 0, v3, vcc
	v_lshl_add_u64 v[4:5], v[4:5], 0, v[0:1]
	v_cmp_lt_i64_e32 vcc, v[4:5], v[2:3]
	s_and_saveexec_b64 s[0:1], vcc
	s_cbranch_execz .LBB27_102
.LBB27_100:
	s_add_u32 s16, s14, s12
	s_addc_u32 s17, 0, 0
	v_lshl_add_u64 v[6:7], v[4:5], 3, s[10:11]
	s_mov_b64 s[14:15], 0
	v_mov_b64_e32 v[10:11], s[16:17]
	s_mov_b64 s[16:17], 0x100
	s_mov_b64 s[18:19], 0x800
.LBB27_101:                             ; =>This Inner Loop Header: Depth=1
	v_lshl_add_u64 v[4:5], v[4:5], 0, s[16:17]
	v_cmp_ge_i64_e32 vcc, v[4:5], v[2:3]
	global_store_dwordx2 v[6:7], v[10:11], off
	s_or_b64 s[14:15], vcc, s[14:15]
	v_lshl_add_u64 v[6:7], v[6:7], 0, s[18:19]
	s_andn2_b64 exec, exec, s[14:15]
	s_cbranch_execnz .LBB27_101
.LBB27_102:
	s_or_b64 exec, exec, s[0:1]
	ds_read_b32 v2, v8 offset:40
	s_waitcnt lgkmcnt(0)
	v_cmp_ne_u32_e32 vcc, 0, v2
	s_cbranch_vccnz .LBB27_111
.LBB27_103:
	s_or_b32 s14, s2, 10
	s_mov_b32 s15, 0
	v_mov_b64_e32 v[2:3], s[14:15]
	v_cmp_le_i64_e32 vcc, s[4:5], v[2:3]
	v_cmp_gt_i64_e64 s[0:1], s[4:5], v[2:3]
	v_mov_b64_e32 v[2:3], 0
	v_mov_b64_e32 v[4:5], 0
	s_cbranch_vccz .LBB27_106
; %bb.104:
	s_andn2_b64 vcc, exec, s[0:1]
	s_cbranch_vccz .LBB27_107
.LBB27_105:
	v_lshl_add_u64 v[4:5], v[4:5], 0, v[0:1]
	v_cmp_lt_i64_e32 vcc, v[4:5], v[2:3]
	s_and_saveexec_b64 s[0:1], vcc
	s_cbranch_execnz .LBB27_108
	s_branch .LBB27_110
.LBB27_106:
	s_lshl_b64 s[16:17], s[2:3], 3
	s_add_u32 s16, s6, s16
	s_addc_u32 s17, s7, s17
	v_mov_b32_e32 v4, 0
	global_load_dwordx2 v[4:5], v4, s[16:17] offset:80
	s_waitcnt vmcnt(0)
	v_subrev_co_u32_e32 v4, vcc, s12, v4
	s_nop 1
	v_subbrev_co_u32_e32 v5, vcc, 0, v5, vcc
	s_andn2_b64 vcc, exec, s[0:1]
	s_cbranch_vccnz .LBB27_105
.LBB27_107:
	s_lshl_b64 s[0:1], s[2:3], 3
	s_add_u32 s0, s8, s0
	s_addc_u32 s1, s9, s1
	v_mov_b32_e32 v2, 0
	global_load_dwordx2 v[2:3], v2, s[0:1] offset:80
	s_waitcnt vmcnt(0)
	v_subrev_co_u32_e32 v2, vcc, s12, v2
	s_nop 1
	v_subbrev_co_u32_e32 v3, vcc, 0, v3, vcc
	v_lshl_add_u64 v[4:5], v[4:5], 0, v[0:1]
	v_cmp_lt_i64_e32 vcc, v[4:5], v[2:3]
	s_and_saveexec_b64 s[0:1], vcc
	s_cbranch_execz .LBB27_110
.LBB27_108:
	s_add_u32 s16, s14, s12
	s_addc_u32 s17, 0, 0
	v_lshl_add_u64 v[6:7], v[4:5], 3, s[10:11]
	s_mov_b64 s[14:15], 0
	v_mov_b64_e32 v[8:9], s[16:17]
	s_mov_b64 s[16:17], 0x100
	s_mov_b64 s[18:19], 0x800
.LBB27_109:                             ; =>This Inner Loop Header: Depth=1
	v_lshl_add_u64 v[4:5], v[4:5], 0, s[16:17]
	v_cmp_ge_i64_e32 vcc, v[4:5], v[2:3]
	global_store_dwordx2 v[6:7], v[8:9], off
	s_or_b64 s[14:15], vcc, s[14:15]
	v_lshl_add_u64 v[6:7], v[6:7], 0, s[18:19]
	s_andn2_b64 exec, exec, s[14:15]
	s_cbranch_execnz .LBB27_109
.LBB27_110:
	s_or_b64 exec, exec, s[0:1]
.LBB27_111:
	v_mov_b32_e32 v8, 0
	ds_read_b32 v2, v8 offset:44
	s_mov_b32 s15, 0
	s_waitcnt lgkmcnt(0)
	v_cmp_ne_u32_e32 vcc, 0, v2
	s_cbranch_vccz .LBB27_113
; %bb.112:
	ds_read_b32 v2, v8 offset:48
	s_waitcnt lgkmcnt(0)
	v_cmp_ne_u32_e32 vcc, 0, v2
	s_cbranch_vccnz .LBB27_129
	s_branch .LBB27_121
.LBB27_113:
	s_or_b32 s14, s2, 11
	v_mov_b64_e32 v[2:3], s[14:15]
	v_cmp_le_i64_e32 vcc, s[4:5], v[2:3]
	v_cmp_gt_i64_e64 s[0:1], s[4:5], v[2:3]
	v_mov_b64_e32 v[2:3], 0
	v_mov_b64_e32 v[4:5], 0
	s_cbranch_vccz .LBB27_116
; %bb.114:
	s_andn2_b64 vcc, exec, s[0:1]
	s_cbranch_vccz .LBB27_117
.LBB27_115:
	v_lshl_add_u64 v[4:5], v[4:5], 0, v[0:1]
	v_cmp_lt_i64_e32 vcc, v[4:5], v[2:3]
	s_and_saveexec_b64 s[0:1], vcc
	s_cbranch_execnz .LBB27_118
	s_branch .LBB27_120
.LBB27_116:
	s_lshl_b64 s[16:17], s[2:3], 3
	s_add_u32 s16, s6, s16
	s_addc_u32 s17, s7, s17
	v_mov_b32_e32 v4, 0
	global_load_dwordx2 v[4:5], v4, s[16:17] offset:88
	s_waitcnt vmcnt(0)
	v_subrev_co_u32_e32 v4, vcc, s12, v4
	s_nop 1
	v_subbrev_co_u32_e32 v5, vcc, 0, v5, vcc
	s_andn2_b64 vcc, exec, s[0:1]
	s_cbranch_vccnz .LBB27_115
.LBB27_117:
	s_lshl_b64 s[0:1], s[2:3], 3
	s_add_u32 s0, s8, s0
	s_addc_u32 s1, s9, s1
	v_mov_b32_e32 v2, 0
	global_load_dwordx2 v[2:3], v2, s[0:1] offset:88
	s_waitcnt vmcnt(0)
	v_subrev_co_u32_e32 v2, vcc, s12, v2
	s_nop 1
	v_subbrev_co_u32_e32 v3, vcc, 0, v3, vcc
	v_lshl_add_u64 v[4:5], v[4:5], 0, v[0:1]
	v_cmp_lt_i64_e32 vcc, v[4:5], v[2:3]
	s_and_saveexec_b64 s[0:1], vcc
	s_cbranch_execz .LBB27_120
.LBB27_118:
	s_add_u32 s16, s14, s12
	s_addc_u32 s17, 0, 0
	v_lshl_add_u64 v[6:7], v[4:5], 3, s[10:11]
	s_mov_b64 s[14:15], 0
	v_mov_b64_e32 v[10:11], s[16:17]
	s_mov_b64 s[16:17], 0x100
	s_mov_b64 s[18:19], 0x800
.LBB27_119:                             ; =>This Inner Loop Header: Depth=1
	v_lshl_add_u64 v[4:5], v[4:5], 0, s[16:17]
	v_cmp_ge_i64_e32 vcc, v[4:5], v[2:3]
	global_store_dwordx2 v[6:7], v[10:11], off
	s_or_b64 s[14:15], vcc, s[14:15]
	v_lshl_add_u64 v[6:7], v[6:7], 0, s[18:19]
	s_andn2_b64 exec, exec, s[14:15]
	s_cbranch_execnz .LBB27_119
.LBB27_120:
	s_or_b64 exec, exec, s[0:1]
	ds_read_b32 v2, v8 offset:48
	s_waitcnt lgkmcnt(0)
	v_cmp_ne_u32_e32 vcc, 0, v2
	s_cbranch_vccnz .LBB27_129
.LBB27_121:
	s_or_b32 s14, s2, 12
	s_mov_b32 s15, 0
	v_mov_b64_e32 v[2:3], s[14:15]
	v_cmp_le_i64_e32 vcc, s[4:5], v[2:3]
	v_cmp_gt_i64_e64 s[0:1], s[4:5], v[2:3]
	v_mov_b64_e32 v[2:3], 0
	v_mov_b64_e32 v[4:5], 0
	s_cbranch_vccz .LBB27_124
; %bb.122:
	s_andn2_b64 vcc, exec, s[0:1]
	s_cbranch_vccz .LBB27_125
.LBB27_123:
	v_lshl_add_u64 v[4:5], v[4:5], 0, v[0:1]
	v_cmp_lt_i64_e32 vcc, v[4:5], v[2:3]
	s_and_saveexec_b64 s[0:1], vcc
	s_cbranch_execnz .LBB27_126
	s_branch .LBB27_128
.LBB27_124:
	s_lshl_b64 s[16:17], s[2:3], 3
	s_add_u32 s16, s6, s16
	s_addc_u32 s17, s7, s17
	v_mov_b32_e32 v4, 0
	global_load_dwordx2 v[4:5], v4, s[16:17] offset:96
	s_waitcnt vmcnt(0)
	v_subrev_co_u32_e32 v4, vcc, s12, v4
	s_nop 1
	v_subbrev_co_u32_e32 v5, vcc, 0, v5, vcc
	s_andn2_b64 vcc, exec, s[0:1]
	s_cbranch_vccnz .LBB27_123
.LBB27_125:
	s_lshl_b64 s[0:1], s[2:3], 3
	s_add_u32 s0, s8, s0
	s_addc_u32 s1, s9, s1
	v_mov_b32_e32 v2, 0
	global_load_dwordx2 v[2:3], v2, s[0:1] offset:96
	s_waitcnt vmcnt(0)
	v_subrev_co_u32_e32 v2, vcc, s12, v2
	s_nop 1
	v_subbrev_co_u32_e32 v3, vcc, 0, v3, vcc
	v_lshl_add_u64 v[4:5], v[4:5], 0, v[0:1]
	v_cmp_lt_i64_e32 vcc, v[4:5], v[2:3]
	s_and_saveexec_b64 s[0:1], vcc
	s_cbranch_execz .LBB27_128
.LBB27_126:
	s_add_u32 s16, s14, s12
	s_addc_u32 s17, 0, 0
	v_lshl_add_u64 v[6:7], v[4:5], 3, s[10:11]
	s_mov_b64 s[14:15], 0
	v_mov_b64_e32 v[8:9], s[16:17]
	s_mov_b64 s[16:17], 0x100
	s_mov_b64 s[18:19], 0x800
.LBB27_127:                             ; =>This Inner Loop Header: Depth=1
	v_lshl_add_u64 v[4:5], v[4:5], 0, s[16:17]
	v_cmp_ge_i64_e32 vcc, v[4:5], v[2:3]
	global_store_dwordx2 v[6:7], v[8:9], off
	s_or_b64 s[14:15], vcc, s[14:15]
	v_lshl_add_u64 v[6:7], v[6:7], 0, s[18:19]
	s_andn2_b64 exec, exec, s[14:15]
	s_cbranch_execnz .LBB27_127
.LBB27_128:
	s_or_b64 exec, exec, s[0:1]
.LBB27_129:
	v_mov_b32_e32 v8, 0
	ds_read_b32 v2, v8 offset:52
	s_mov_b32 s15, 0
	s_waitcnt lgkmcnt(0)
	v_cmp_ne_u32_e32 vcc, 0, v2
	s_cbranch_vccz .LBB27_131
; %bb.130:
	ds_read_b32 v2, v8 offset:56
	s_waitcnt lgkmcnt(0)
	v_cmp_ne_u32_e32 vcc, 0, v2
	s_cbranch_vccnz .LBB27_147
	s_branch .LBB27_139
.LBB27_131:
	s_or_b32 s14, s2, 13
	v_mov_b64_e32 v[2:3], s[14:15]
	v_cmp_le_i64_e32 vcc, s[4:5], v[2:3]
	v_cmp_gt_i64_e64 s[0:1], s[4:5], v[2:3]
	v_mov_b64_e32 v[2:3], 0
	v_mov_b64_e32 v[4:5], 0
	s_cbranch_vccz .LBB27_134
; %bb.132:
	s_andn2_b64 vcc, exec, s[0:1]
	s_cbranch_vccz .LBB27_135
.LBB27_133:
	v_lshl_add_u64 v[4:5], v[4:5], 0, v[0:1]
	v_cmp_lt_i64_e32 vcc, v[4:5], v[2:3]
	s_and_saveexec_b64 s[0:1], vcc
	s_cbranch_execnz .LBB27_136
	s_branch .LBB27_138
.LBB27_134:
	s_lshl_b64 s[16:17], s[2:3], 3
	s_add_u32 s16, s6, s16
	s_addc_u32 s17, s7, s17
	v_mov_b32_e32 v4, 0
	global_load_dwordx2 v[4:5], v4, s[16:17] offset:104
	s_waitcnt vmcnt(0)
	v_subrev_co_u32_e32 v4, vcc, s12, v4
	s_nop 1
	v_subbrev_co_u32_e32 v5, vcc, 0, v5, vcc
	s_andn2_b64 vcc, exec, s[0:1]
	s_cbranch_vccnz .LBB27_133
.LBB27_135:
	s_lshl_b64 s[0:1], s[2:3], 3
	s_add_u32 s0, s8, s0
	s_addc_u32 s1, s9, s1
	v_mov_b32_e32 v2, 0
	global_load_dwordx2 v[2:3], v2, s[0:1] offset:104
	s_waitcnt vmcnt(0)
	v_subrev_co_u32_e32 v2, vcc, s12, v2
	s_nop 1
	v_subbrev_co_u32_e32 v3, vcc, 0, v3, vcc
	v_lshl_add_u64 v[4:5], v[4:5], 0, v[0:1]
	v_cmp_lt_i64_e32 vcc, v[4:5], v[2:3]
	s_and_saveexec_b64 s[0:1], vcc
	s_cbranch_execz .LBB27_138
.LBB27_136:
	s_add_u32 s16, s14, s12
	s_addc_u32 s17, 0, 0
	v_lshl_add_u64 v[6:7], v[4:5], 3, s[10:11]
	s_mov_b64 s[14:15], 0
	v_mov_b64_e32 v[10:11], s[16:17]
	s_mov_b64 s[16:17], 0x100
	s_mov_b64 s[18:19], 0x800
.LBB27_137:                             ; =>This Inner Loop Header: Depth=1
	v_lshl_add_u64 v[4:5], v[4:5], 0, s[16:17]
	v_cmp_ge_i64_e32 vcc, v[4:5], v[2:3]
	global_store_dwordx2 v[6:7], v[10:11], off
	s_or_b64 s[14:15], vcc, s[14:15]
	v_lshl_add_u64 v[6:7], v[6:7], 0, s[18:19]
	s_andn2_b64 exec, exec, s[14:15]
	s_cbranch_execnz .LBB27_137
.LBB27_138:
	s_or_b64 exec, exec, s[0:1]
	ds_read_b32 v2, v8 offset:56
	s_waitcnt lgkmcnt(0)
	v_cmp_ne_u32_e32 vcc, 0, v2
	s_cbranch_vccnz .LBB27_147
.LBB27_139:
	s_or_b32 s14, s2, 14
	s_mov_b32 s15, 0
	v_mov_b64_e32 v[2:3], s[14:15]
	v_cmp_le_i64_e32 vcc, s[4:5], v[2:3]
	v_cmp_gt_i64_e64 s[0:1], s[4:5], v[2:3]
	v_mov_b64_e32 v[2:3], 0
	v_mov_b64_e32 v[4:5], 0
	s_cbranch_vccz .LBB27_142
; %bb.140:
	s_andn2_b64 vcc, exec, s[0:1]
	s_cbranch_vccz .LBB27_143
.LBB27_141:
	v_lshl_add_u64 v[4:5], v[4:5], 0, v[0:1]
	v_cmp_lt_i64_e32 vcc, v[4:5], v[2:3]
	s_and_saveexec_b64 s[0:1], vcc
	s_cbranch_execnz .LBB27_144
	s_branch .LBB27_146
.LBB27_142:
	s_lshl_b64 s[16:17], s[2:3], 3
	s_add_u32 s16, s6, s16
	s_addc_u32 s17, s7, s17
	v_mov_b32_e32 v4, 0
	global_load_dwordx2 v[4:5], v4, s[16:17] offset:112
	s_waitcnt vmcnt(0)
	v_subrev_co_u32_e32 v4, vcc, s12, v4
	s_nop 1
	v_subbrev_co_u32_e32 v5, vcc, 0, v5, vcc
	s_andn2_b64 vcc, exec, s[0:1]
	s_cbranch_vccnz .LBB27_141
.LBB27_143:
	s_lshl_b64 s[0:1], s[2:3], 3
	s_add_u32 s0, s8, s0
	s_addc_u32 s1, s9, s1
	v_mov_b32_e32 v2, 0
	global_load_dwordx2 v[2:3], v2, s[0:1] offset:112
	s_waitcnt vmcnt(0)
	v_subrev_co_u32_e32 v2, vcc, s12, v2
	s_nop 1
	v_subbrev_co_u32_e32 v3, vcc, 0, v3, vcc
	v_lshl_add_u64 v[4:5], v[4:5], 0, v[0:1]
	v_cmp_lt_i64_e32 vcc, v[4:5], v[2:3]
	s_and_saveexec_b64 s[0:1], vcc
	s_cbranch_execz .LBB27_146
.LBB27_144:
	s_add_u32 s16, s14, s12
	s_addc_u32 s17, 0, 0
	v_lshl_add_u64 v[6:7], v[4:5], 3, s[10:11]
	s_mov_b64 s[14:15], 0
	v_mov_b64_e32 v[8:9], s[16:17]
	s_mov_b64 s[16:17], 0x100
	s_mov_b64 s[18:19], 0x800
.LBB27_145:                             ; =>This Inner Loop Header: Depth=1
	v_lshl_add_u64 v[4:5], v[4:5], 0, s[16:17]
	v_cmp_ge_i64_e32 vcc, v[4:5], v[2:3]
	global_store_dwordx2 v[6:7], v[8:9], off
	s_or_b64 s[14:15], vcc, s[14:15]
	v_lshl_add_u64 v[6:7], v[6:7], 0, s[18:19]
	s_andn2_b64 exec, exec, s[14:15]
	s_cbranch_execnz .LBB27_145
.LBB27_146:
	s_or_b64 exec, exec, s[0:1]
.LBB27_147:
	v_mov_b32_e32 v2, 0
	ds_read_b32 v2, v2 offset:60
	s_mov_b32 s15, 0
	s_waitcnt lgkmcnt(0)
	v_cmp_ne_u32_e32 vcc, 0, v2
	s_cbranch_vccnz .LBB27_155
; %bb.148:
	s_or_b32 s14, s2, 15
	v_mov_b64_e32 v[2:3], s[14:15]
	v_cmp_le_i64_e32 vcc, s[4:5], v[2:3]
	v_cmp_gt_i64_e64 s[0:1], s[4:5], v[2:3]
	v_mov_b64_e32 v[2:3], 0
	v_mov_b64_e32 v[4:5], 0
	s_cbranch_vccz .LBB27_151
; %bb.149:
	s_andn2_b64 vcc, exec, s[0:1]
	s_cbranch_vccz .LBB27_152
.LBB27_150:
	v_lshl_add_u64 v[0:1], v[4:5], 0, v[0:1]
	v_cmp_lt_i64_e32 vcc, v[0:1], v[2:3]
	s_and_saveexec_b64 s[0:1], vcc
	s_cbranch_execnz .LBB27_153
	s_branch .LBB27_155
.LBB27_151:
	s_lshl_b64 s[4:5], s[2:3], 3
	s_add_u32 s4, s6, s4
	s_addc_u32 s5, s7, s5
	v_mov_b32_e32 v4, 0
	global_load_dwordx2 v[4:5], v4, s[4:5] offset:120
	s_waitcnt vmcnt(0)
	v_subrev_co_u32_e32 v4, vcc, s12, v4
	s_nop 1
	v_subbrev_co_u32_e32 v5, vcc, 0, v5, vcc
	s_andn2_b64 vcc, exec, s[0:1]
	s_cbranch_vccnz .LBB27_150
.LBB27_152:
	s_lshl_b64 s[0:1], s[2:3], 3
	s_add_u32 s0, s8, s0
	s_addc_u32 s1, s9, s1
	v_mov_b32_e32 v2, 0
	global_load_dwordx2 v[2:3], v2, s[0:1] offset:120
	s_waitcnt vmcnt(0)
	v_subrev_co_u32_e32 v2, vcc, s12, v2
	s_nop 1
	v_subbrev_co_u32_e32 v3, vcc, 0, v3, vcc
	v_lshl_add_u64 v[0:1], v[4:5], 0, v[0:1]
	v_cmp_lt_i64_e32 vcc, v[0:1], v[2:3]
	s_and_saveexec_b64 s[0:1], vcc
	s_cbranch_execz .LBB27_155
.LBB27_153:
	s_add_u32 s2, s14, s12
	s_addc_u32 s3, 0, 0
	v_lshl_add_u64 v[4:5], v[0:1], 3, s[10:11]
	s_mov_b64 s[0:1], 0
	v_mov_b64_e32 v[6:7], s[2:3]
	s_mov_b64 s[2:3], 0x100
	s_mov_b64 s[4:5], 0x800
.LBB27_154:                             ; =>This Inner Loop Header: Depth=1
	v_lshl_add_u64 v[0:1], v[0:1], 0, s[2:3]
	v_cmp_ge_i64_e32 vcc, v[0:1], v[2:3]
	global_store_dwordx2 v[4:5], v[6:7], off
	s_or_b64 s[0:1], vcc, s[0:1]
	v_lshl_add_u64 v[4:5], v[4:5], 0, s[4:5]
	s_andn2_b64 exec, exec, s[0:1]
	s_cbranch_execnz .LBB27_154
.LBB27_155:
	s_endpgm
	.section	.rodata,"a",@progbits
	.p2align	6, 0x0
	.amdhsa_kernel _ZN9rocsparseL14csr2coo_kernelILj256ELj16EllEEvT2_PKT1_S4_PS1_21rocsparse_index_base_
		.amdhsa_group_segment_fixed_size 68
		.amdhsa_private_segment_fixed_size 0
		.amdhsa_kernarg_size 36
		.amdhsa_user_sgpr_count 2
		.amdhsa_user_sgpr_dispatch_ptr 0
		.amdhsa_user_sgpr_queue_ptr 0
		.amdhsa_user_sgpr_kernarg_segment_ptr 1
		.amdhsa_user_sgpr_dispatch_id 0
		.amdhsa_user_sgpr_kernarg_preload_length 0
		.amdhsa_user_sgpr_kernarg_preload_offset 0
		.amdhsa_user_sgpr_private_segment_size 0
		.amdhsa_uses_dynamic_stack 0
		.amdhsa_enable_private_segment 0
		.amdhsa_system_sgpr_workgroup_id_x 1
		.amdhsa_system_sgpr_workgroup_id_y 0
		.amdhsa_system_sgpr_workgroup_id_z 0
		.amdhsa_system_sgpr_workgroup_info 0
		.amdhsa_system_vgpr_workitem_id 0
		.amdhsa_next_free_vgpr 12
		.amdhsa_next_free_sgpr 22
		.amdhsa_accum_offset 12
		.amdhsa_reserve_vcc 1
		.amdhsa_float_round_mode_32 0
		.amdhsa_float_round_mode_16_64 0
		.amdhsa_float_denorm_mode_32 3
		.amdhsa_float_denorm_mode_16_64 3
		.amdhsa_dx10_clamp 1
		.amdhsa_ieee_mode 1
		.amdhsa_fp16_overflow 0
		.amdhsa_tg_split 0
		.amdhsa_exception_fp_ieee_invalid_op 0
		.amdhsa_exception_fp_denorm_src 0
		.amdhsa_exception_fp_ieee_div_zero 0
		.amdhsa_exception_fp_ieee_overflow 0
		.amdhsa_exception_fp_ieee_underflow 0
		.amdhsa_exception_fp_ieee_inexact 0
		.amdhsa_exception_int_div_zero 0
	.end_amdhsa_kernel
	.section	.text._ZN9rocsparseL14csr2coo_kernelILj256ELj16EllEEvT2_PKT1_S4_PS1_21rocsparse_index_base_,"axG",@progbits,_ZN9rocsparseL14csr2coo_kernelILj256ELj16EllEEvT2_PKT1_S4_PS1_21rocsparse_index_base_,comdat
.Lfunc_end27:
	.size	_ZN9rocsparseL14csr2coo_kernelILj256ELj16EllEEvT2_PKT1_S4_PS1_21rocsparse_index_base_, .Lfunc_end27-_ZN9rocsparseL14csr2coo_kernelILj256ELj16EllEEvT2_PKT1_S4_PS1_21rocsparse_index_base_
                                        ; -- End function
	.set _ZN9rocsparseL14csr2coo_kernelILj256ELj16EllEEvT2_PKT1_S4_PS1_21rocsparse_index_base_.num_vgpr, 12
	.set _ZN9rocsparseL14csr2coo_kernelILj256ELj16EllEEvT2_PKT1_S4_PS1_21rocsparse_index_base_.num_agpr, 0
	.set _ZN9rocsparseL14csr2coo_kernelILj256ELj16EllEEvT2_PKT1_S4_PS1_21rocsparse_index_base_.numbered_sgpr, 22
	.set _ZN9rocsparseL14csr2coo_kernelILj256ELj16EllEEvT2_PKT1_S4_PS1_21rocsparse_index_base_.num_named_barrier, 0
	.set _ZN9rocsparseL14csr2coo_kernelILj256ELj16EllEEvT2_PKT1_S4_PS1_21rocsparse_index_base_.private_seg_size, 0
	.set _ZN9rocsparseL14csr2coo_kernelILj256ELj16EllEEvT2_PKT1_S4_PS1_21rocsparse_index_base_.uses_vcc, 1
	.set _ZN9rocsparseL14csr2coo_kernelILj256ELj16EllEEvT2_PKT1_S4_PS1_21rocsparse_index_base_.uses_flat_scratch, 0
	.set _ZN9rocsparseL14csr2coo_kernelILj256ELj16EllEEvT2_PKT1_S4_PS1_21rocsparse_index_base_.has_dyn_sized_stack, 0
	.set _ZN9rocsparseL14csr2coo_kernelILj256ELj16EllEEvT2_PKT1_S4_PS1_21rocsparse_index_base_.has_recursion, 0
	.set _ZN9rocsparseL14csr2coo_kernelILj256ELj16EllEEvT2_PKT1_S4_PS1_21rocsparse_index_base_.has_indirect_call, 0
	.section	.AMDGPU.csdata,"",@progbits
; Kernel info:
; codeLenInByte = 5080
; TotalNumSgprs: 28
; NumVgprs: 12
; NumAgprs: 0
; TotalNumVgprs: 12
; ScratchSize: 0
; MemoryBound: 0
; FloatMode: 240
; IeeeMode: 1
; LDSByteSize: 68 bytes/workgroup (compile time only)
; SGPRBlocks: 3
; VGPRBlocks: 1
; NumSGPRsForWavesPerEU: 28
; NumVGPRsForWavesPerEU: 12
; AccumOffset: 12
; Occupancy: 8
; WaveLimiterHint : 0
; COMPUTE_PGM_RSRC2:SCRATCH_EN: 0
; COMPUTE_PGM_RSRC2:USER_SGPR: 2
; COMPUTE_PGM_RSRC2:TRAP_HANDLER: 0
; COMPUTE_PGM_RSRC2:TGID_X_EN: 1
; COMPUTE_PGM_RSRC2:TGID_Y_EN: 0
; COMPUTE_PGM_RSRC2:TGID_Z_EN: 0
; COMPUTE_PGM_RSRC2:TIDIG_COMP_CNT: 0
; COMPUTE_PGM_RSRC3_GFX90A:ACCUM_OFFSET: 2
; COMPUTE_PGM_RSRC3_GFX90A:TG_SPLIT: 0
	.section	.text._ZN9rocsparseL14csr2coo_kernelILj256ELj32EllEEvT2_PKT1_S4_PS1_21rocsparse_index_base_,"axG",@progbits,_ZN9rocsparseL14csr2coo_kernelILj256ELj32EllEEvT2_PKT1_S4_PS1_21rocsparse_index_base_,comdat
	.globl	_ZN9rocsparseL14csr2coo_kernelILj256ELj32EllEEvT2_PKT1_S4_PS1_21rocsparse_index_base_ ; -- Begin function _ZN9rocsparseL14csr2coo_kernelILj256ELj32EllEEvT2_PKT1_S4_PS1_21rocsparse_index_base_
	.p2align	8
	.type	_ZN9rocsparseL14csr2coo_kernelILj256ELj32EllEEvT2_PKT1_S4_PS1_21rocsparse_index_base_,@function
_ZN9rocsparseL14csr2coo_kernelILj256ELj32EllEEvT2_PKT1_S4_PS1_21rocsparse_index_base_: ; @_ZN9rocsparseL14csr2coo_kernelILj256ELj32EllEEvT2_PKT1_S4_PS1_21rocsparse_index_base_
; %bb.0:
	s_load_dwordx8 s[4:11], s[0:1], 0x0
	s_load_dword s12, s[0:1], 0x20
	v_mov_b32_e32 v1, 0
	v_lshrrev_b32_e32 v2, 5, v0
	s_lshl_b32 s2, s2, 3
	v_mov_b32_e32 v3, 1
	v_or_b32_e32 v4, s2, v2
	v_mov_b32_e32 v5, v1
	s_mov_b32 s3, 0
	ds_write_b32 v1, v3 offset:32
	s_waitcnt lgkmcnt(0)
	v_cmp_gt_i64_e32 vcc, s[4:5], v[4:5]
	v_mov_b64_e32 v[2:3], 0
	v_mov_b64_e32 v[6:7], 0
	s_barrier
	s_and_saveexec_b64 s[14:15], vcc
	s_cbranch_execz .LBB28_2
; %bb.1:
	v_lshl_add_u64 v[6:7], v[4:5], 3, s[6:7]
	global_load_dwordx2 v[6:7], v[6:7], off
	s_waitcnt vmcnt(0)
	v_subrev_co_u32_e64 v6, s[0:1], s12, v6
	s_nop 1
	v_subbrev_co_u32_e64 v7, s[0:1], 0, v7, s[0:1]
.LBB28_2:
	s_or_b64 exec, exec, s[14:15]
	s_and_saveexec_b64 s[0:1], vcc
	s_cbranch_execz .LBB28_4
; %bb.3:
	v_lshl_add_u64 v[2:3], v[4:5], 3, s[8:9]
	global_load_dwordx2 v[2:3], v[2:3], off
	s_waitcnt vmcnt(0)
	v_subrev_co_u32_e32 v2, vcc, s12, v2
	s_nop 1
	v_subbrev_co_u32_e32 v3, vcc, 0, v3, vcc
.LBB28_4:
	s_or_b64 exec, exec, s[0:1]
	v_sub_co_u32_e32 v8, vcc, v2, v6
	s_mov_b64 s[0:1], 0x101
	s_nop 0
	v_subb_co_u32_e32 v9, vcc, v3, v7, vcc
	v_cmp_gt_i64_e32 vcc, s[0:1], v[8:9]
	s_mov_b64 s[0:1], 0x100
	v_cmp_lt_i64_e64 s[0:1], s[0:1], v[8:9]
	s_and_saveexec_b64 s[14:15], s[0:1]
	s_xor_b64 s[0:1], exec, s[14:15]
; %bb.5:
	v_mov_b32_e32 v2, 0
	ds_write_b32 v2, v2 offset:32
                                        ; implicit-def: $vgpr6_vgpr7
                                        ; implicit-def: $vgpr2_vgpr3
                                        ; implicit-def: $vgpr4_vgpr5
; %bb.6:
	s_andn2_saveexec_b64 s[14:15], s[0:1]
	s_cbranch_execz .LBB28_11
; %bb.7:
	v_and_b32_e32 v8, 31, v0
	v_mov_b32_e32 v9, 0
	v_lshl_add_u64 v[6:7], v[6:7], 0, v[8:9]
	v_cmp_lt_i64_e64 s[0:1], v[6:7], v[2:3]
	s_and_saveexec_b64 s[16:17], s[0:1]
	s_cbranch_execz .LBB28_10
; %bb.8:
	s_mov_b32 s13, 0
	v_lshl_add_u64 v[4:5], v[4:5], 0, s[12:13]
	v_lshl_add_u64 v[8:9], v[6:7], 3, s[10:11]
	s_mov_b64 s[18:19], 0
	s_mov_b64 s[20:21], 0x100
.LBB28_9:                               ; =>This Inner Loop Header: Depth=1
	v_lshl_add_u64 v[6:7], v[6:7], 0, 32
	v_cmp_ge_i64_e64 s[0:1], v[6:7], v[2:3]
	global_store_dwordx2 v[8:9], v[4:5], off
	s_or_b64 s[18:19], s[0:1], s[18:19]
	v_lshl_add_u64 v[8:9], v[8:9], 0, s[20:21]
	s_andn2_b64 exec, exec, s[18:19]
	s_cbranch_execnz .LBB28_9
.LBB28_10:
	s_or_b64 exec, exec, s[16:17]
.LBB28_11:
	s_or_b64 exec, exec, s[14:15]
	v_lshrrev_b32_e32 v3, 3, v0
	v_cndmask_b32_e64 v2, 0, 1, vcc
	v_and_b32_e32 v3, 28, v3
	ds_write_b32 v3, v2
	v_mov_b32_e32 v2, 0
	s_waitcnt lgkmcnt(0)
	s_barrier
	ds_read_b32 v3, v2 offset:32
	s_waitcnt lgkmcnt(0)
	v_cmp_ne_u32_e32 vcc, 0, v3
	s_cbranch_vccnz .LBB28_83
; %bb.12:
	ds_read_b32 v2, v2
	s_waitcnt lgkmcnt(0)
	v_cmp_ne_u32_e32 vcc, 0, v2
	s_cbranch_vccnz .LBB28_21
; %bb.13:
	v_mov_b64_e32 v[2:3], s[2:3]
	v_cmp_le_i64_e32 vcc, s[4:5], v[2:3]
	v_cmp_gt_i64_e64 s[0:1], s[4:5], v[2:3]
	v_mov_b64_e32 v[2:3], 0
	v_mov_b64_e32 v[4:5], 0
	s_cbranch_vccz .LBB28_16
; %bb.14:
	s_andn2_b64 vcc, exec, s[0:1]
	s_cbranch_vccz .LBB28_17
.LBB28_15:
	v_lshl_add_u64 v[4:5], v[4:5], 0, v[0:1]
	v_cmp_lt_i64_e32 vcc, v[4:5], v[2:3]
	s_and_saveexec_b64 s[0:1], vcc
	s_cbranch_execnz .LBB28_18
	s_branch .LBB28_20
.LBB28_16:
	s_lshl_b64 s[14:15], s[2:3], 3
	s_add_u32 s14, s6, s14
	s_addc_u32 s15, s7, s15
	v_mov_b32_e32 v4, 0
	global_load_dwordx2 v[4:5], v4, s[14:15]
	s_waitcnt vmcnt(0)
	v_subrev_co_u32_e32 v4, vcc, s12, v4
	s_nop 1
	v_subbrev_co_u32_e32 v5, vcc, 0, v5, vcc
	s_andn2_b64 vcc, exec, s[0:1]
	s_cbranch_vccnz .LBB28_15
.LBB28_17:
	s_lshl_b64 s[0:1], s[2:3], 3
	s_add_u32 s0, s8, s0
	s_addc_u32 s1, s9, s1
	v_mov_b32_e32 v2, 0
	global_load_dwordx2 v[2:3], v2, s[0:1]
	s_waitcnt vmcnt(0)
	v_subrev_co_u32_e32 v2, vcc, s12, v2
	s_nop 1
	v_subbrev_co_u32_e32 v3, vcc, 0, v3, vcc
	v_lshl_add_u64 v[4:5], v[4:5], 0, v[0:1]
	v_cmp_lt_i64_e32 vcc, v[4:5], v[2:3]
	s_and_saveexec_b64 s[0:1], vcc
	s_cbranch_execz .LBB28_20
.LBB28_18:
	s_add_u32 s16, s2, s12
	s_addc_u32 s17, 0, 0
	v_lshl_add_u64 v[6:7], v[4:5], 3, s[10:11]
	s_mov_b64 s[14:15], 0
	v_mov_b64_e32 v[8:9], s[16:17]
	s_mov_b64 s[16:17], 0x100
	s_mov_b64 s[18:19], 0x800
.LBB28_19:                              ; =>This Inner Loop Header: Depth=1
	v_lshl_add_u64 v[4:5], v[4:5], 0, s[16:17]
	v_cmp_ge_i64_e32 vcc, v[4:5], v[2:3]
	global_store_dwordx2 v[6:7], v[8:9], off
	s_or_b64 s[14:15], vcc, s[14:15]
	v_lshl_add_u64 v[6:7], v[6:7], 0, s[18:19]
	s_andn2_b64 exec, exec, s[14:15]
	s_cbranch_execnz .LBB28_19
.LBB28_20:
	s_or_b64 exec, exec, s[0:1]
.LBB28_21:
	v_mov_b32_e32 v8, 0
	ds_read_b32 v2, v8 offset:4
	s_mov_b32 s15, 0
	s_waitcnt lgkmcnt(0)
	v_cmp_ne_u32_e32 vcc, 0, v2
	s_cbranch_vccz .LBB28_23
; %bb.22:
	ds_read_b32 v2, v8 offset:8
	s_waitcnt lgkmcnt(0)
	v_cmp_ne_u32_e32 vcc, 0, v2
	s_cbranch_vccnz .LBB28_39
	s_branch .LBB28_31
.LBB28_23:
	s_or_b32 s14, s2, 1
	v_mov_b64_e32 v[2:3], s[14:15]
	v_cmp_le_i64_e32 vcc, s[4:5], v[2:3]
	v_cmp_gt_i64_e64 s[0:1], s[4:5], v[2:3]
	v_mov_b64_e32 v[2:3], 0
	v_mov_b64_e32 v[4:5], 0
	s_cbranch_vccz .LBB28_26
; %bb.24:
	s_andn2_b64 vcc, exec, s[0:1]
	s_cbranch_vccz .LBB28_27
.LBB28_25:
	v_lshl_add_u64 v[4:5], v[4:5], 0, v[0:1]
	v_cmp_lt_i64_e32 vcc, v[4:5], v[2:3]
	s_and_saveexec_b64 s[0:1], vcc
	s_cbranch_execnz .LBB28_28
	s_branch .LBB28_30
.LBB28_26:
	s_lshl_b64 s[16:17], s[2:3], 3
	s_add_u32 s16, s6, s16
	s_addc_u32 s17, s7, s17
	v_mov_b32_e32 v4, 0
	global_load_dwordx2 v[4:5], v4, s[16:17] offset:8
	s_waitcnt vmcnt(0)
	v_subrev_co_u32_e32 v4, vcc, s12, v4
	s_nop 1
	v_subbrev_co_u32_e32 v5, vcc, 0, v5, vcc
	s_andn2_b64 vcc, exec, s[0:1]
	s_cbranch_vccnz .LBB28_25
.LBB28_27:
	s_lshl_b64 s[0:1], s[2:3], 3
	s_add_u32 s0, s8, s0
	s_addc_u32 s1, s9, s1
	v_mov_b32_e32 v2, 0
	global_load_dwordx2 v[2:3], v2, s[0:1] offset:8
	s_waitcnt vmcnt(0)
	v_subrev_co_u32_e32 v2, vcc, s12, v2
	s_nop 1
	v_subbrev_co_u32_e32 v3, vcc, 0, v3, vcc
	v_lshl_add_u64 v[4:5], v[4:5], 0, v[0:1]
	v_cmp_lt_i64_e32 vcc, v[4:5], v[2:3]
	s_and_saveexec_b64 s[0:1], vcc
	s_cbranch_execz .LBB28_30
.LBB28_28:
	s_add_u32 s16, s14, s12
	s_addc_u32 s17, 0, 0
	v_lshl_add_u64 v[6:7], v[4:5], 3, s[10:11]
	s_mov_b64 s[14:15], 0
	v_mov_b64_e32 v[10:11], s[16:17]
	s_mov_b64 s[16:17], 0x100
	s_mov_b64 s[18:19], 0x800
.LBB28_29:                              ; =>This Inner Loop Header: Depth=1
	v_lshl_add_u64 v[4:5], v[4:5], 0, s[16:17]
	v_cmp_ge_i64_e32 vcc, v[4:5], v[2:3]
	global_store_dwordx2 v[6:7], v[10:11], off
	s_or_b64 s[14:15], vcc, s[14:15]
	v_lshl_add_u64 v[6:7], v[6:7], 0, s[18:19]
	s_andn2_b64 exec, exec, s[14:15]
	s_cbranch_execnz .LBB28_29
.LBB28_30:
	s_or_b64 exec, exec, s[0:1]
	ds_read_b32 v2, v8 offset:8
	s_waitcnt lgkmcnt(0)
	v_cmp_ne_u32_e32 vcc, 0, v2
	s_cbranch_vccnz .LBB28_39
.LBB28_31:
	s_or_b32 s14, s2, 2
	s_mov_b32 s15, 0
	v_mov_b64_e32 v[2:3], s[14:15]
	v_cmp_le_i64_e32 vcc, s[4:5], v[2:3]
	v_cmp_gt_i64_e64 s[0:1], s[4:5], v[2:3]
	v_mov_b64_e32 v[2:3], 0
	v_mov_b64_e32 v[4:5], 0
	s_cbranch_vccz .LBB28_34
; %bb.32:
	s_andn2_b64 vcc, exec, s[0:1]
	s_cbranch_vccz .LBB28_35
.LBB28_33:
	v_lshl_add_u64 v[4:5], v[4:5], 0, v[0:1]
	v_cmp_lt_i64_e32 vcc, v[4:5], v[2:3]
	s_and_saveexec_b64 s[0:1], vcc
	s_cbranch_execnz .LBB28_36
	s_branch .LBB28_38
.LBB28_34:
	s_lshl_b64 s[16:17], s[2:3], 3
	s_add_u32 s16, s6, s16
	s_addc_u32 s17, s7, s17
	v_mov_b32_e32 v4, 0
	global_load_dwordx2 v[4:5], v4, s[16:17] offset:16
	s_waitcnt vmcnt(0)
	v_subrev_co_u32_e32 v4, vcc, s12, v4
	s_nop 1
	v_subbrev_co_u32_e32 v5, vcc, 0, v5, vcc
	s_andn2_b64 vcc, exec, s[0:1]
	s_cbranch_vccnz .LBB28_33
.LBB28_35:
	s_lshl_b64 s[0:1], s[2:3], 3
	s_add_u32 s0, s8, s0
	s_addc_u32 s1, s9, s1
	v_mov_b32_e32 v2, 0
	global_load_dwordx2 v[2:3], v2, s[0:1] offset:16
	s_waitcnt vmcnt(0)
	v_subrev_co_u32_e32 v2, vcc, s12, v2
	s_nop 1
	v_subbrev_co_u32_e32 v3, vcc, 0, v3, vcc
	v_lshl_add_u64 v[4:5], v[4:5], 0, v[0:1]
	v_cmp_lt_i64_e32 vcc, v[4:5], v[2:3]
	s_and_saveexec_b64 s[0:1], vcc
	s_cbranch_execz .LBB28_38
.LBB28_36:
	s_add_u32 s16, s14, s12
	s_addc_u32 s17, 0, 0
	v_lshl_add_u64 v[6:7], v[4:5], 3, s[10:11]
	s_mov_b64 s[14:15], 0
	v_mov_b64_e32 v[8:9], s[16:17]
	s_mov_b64 s[16:17], 0x100
	s_mov_b64 s[18:19], 0x800
.LBB28_37:                              ; =>This Inner Loop Header: Depth=1
	v_lshl_add_u64 v[4:5], v[4:5], 0, s[16:17]
	v_cmp_ge_i64_e32 vcc, v[4:5], v[2:3]
	global_store_dwordx2 v[6:7], v[8:9], off
	s_or_b64 s[14:15], vcc, s[14:15]
	v_lshl_add_u64 v[6:7], v[6:7], 0, s[18:19]
	s_andn2_b64 exec, exec, s[14:15]
	s_cbranch_execnz .LBB28_37
.LBB28_38:
	s_or_b64 exec, exec, s[0:1]
.LBB28_39:
	v_mov_b32_e32 v8, 0
	ds_read_b32 v2, v8 offset:12
	s_mov_b32 s15, 0
	s_waitcnt lgkmcnt(0)
	v_cmp_ne_u32_e32 vcc, 0, v2
	s_cbranch_vccz .LBB28_41
; %bb.40:
	ds_read_b32 v2, v8 offset:16
	s_waitcnt lgkmcnt(0)
	v_cmp_ne_u32_e32 vcc, 0, v2
	s_cbranch_vccnz .LBB28_57
	s_branch .LBB28_49
.LBB28_41:
	s_or_b32 s14, s2, 3
	v_mov_b64_e32 v[2:3], s[14:15]
	v_cmp_le_i64_e32 vcc, s[4:5], v[2:3]
	v_cmp_gt_i64_e64 s[0:1], s[4:5], v[2:3]
	v_mov_b64_e32 v[2:3], 0
	v_mov_b64_e32 v[4:5], 0
	s_cbranch_vccz .LBB28_44
; %bb.42:
	s_andn2_b64 vcc, exec, s[0:1]
	s_cbranch_vccz .LBB28_45
.LBB28_43:
	v_lshl_add_u64 v[4:5], v[4:5], 0, v[0:1]
	v_cmp_lt_i64_e32 vcc, v[4:5], v[2:3]
	s_and_saveexec_b64 s[0:1], vcc
	s_cbranch_execnz .LBB28_46
	s_branch .LBB28_48
.LBB28_44:
	s_lshl_b64 s[16:17], s[2:3], 3
	s_add_u32 s16, s6, s16
	s_addc_u32 s17, s7, s17
	v_mov_b32_e32 v4, 0
	global_load_dwordx2 v[4:5], v4, s[16:17] offset:24
	s_waitcnt vmcnt(0)
	v_subrev_co_u32_e32 v4, vcc, s12, v4
	s_nop 1
	v_subbrev_co_u32_e32 v5, vcc, 0, v5, vcc
	s_andn2_b64 vcc, exec, s[0:1]
	s_cbranch_vccnz .LBB28_43
.LBB28_45:
	s_lshl_b64 s[0:1], s[2:3], 3
	s_add_u32 s0, s8, s0
	s_addc_u32 s1, s9, s1
	v_mov_b32_e32 v2, 0
	global_load_dwordx2 v[2:3], v2, s[0:1] offset:24
	s_waitcnt vmcnt(0)
	v_subrev_co_u32_e32 v2, vcc, s12, v2
	s_nop 1
	v_subbrev_co_u32_e32 v3, vcc, 0, v3, vcc
	v_lshl_add_u64 v[4:5], v[4:5], 0, v[0:1]
	v_cmp_lt_i64_e32 vcc, v[4:5], v[2:3]
	s_and_saveexec_b64 s[0:1], vcc
	s_cbranch_execz .LBB28_48
.LBB28_46:
	s_add_u32 s16, s14, s12
	s_addc_u32 s17, 0, 0
	v_lshl_add_u64 v[6:7], v[4:5], 3, s[10:11]
	s_mov_b64 s[14:15], 0
	v_mov_b64_e32 v[10:11], s[16:17]
	s_mov_b64 s[16:17], 0x100
	s_mov_b64 s[18:19], 0x800
.LBB28_47:                              ; =>This Inner Loop Header: Depth=1
	v_lshl_add_u64 v[4:5], v[4:5], 0, s[16:17]
	v_cmp_ge_i64_e32 vcc, v[4:5], v[2:3]
	global_store_dwordx2 v[6:7], v[10:11], off
	s_or_b64 s[14:15], vcc, s[14:15]
	v_lshl_add_u64 v[6:7], v[6:7], 0, s[18:19]
	s_andn2_b64 exec, exec, s[14:15]
	s_cbranch_execnz .LBB28_47
.LBB28_48:
	s_or_b64 exec, exec, s[0:1]
	ds_read_b32 v2, v8 offset:16
	s_waitcnt lgkmcnt(0)
	v_cmp_ne_u32_e32 vcc, 0, v2
	s_cbranch_vccnz .LBB28_57
.LBB28_49:
	s_or_b32 s14, s2, 4
	s_mov_b32 s15, 0
	v_mov_b64_e32 v[2:3], s[14:15]
	v_cmp_le_i64_e32 vcc, s[4:5], v[2:3]
	v_cmp_gt_i64_e64 s[0:1], s[4:5], v[2:3]
	v_mov_b64_e32 v[2:3], 0
	v_mov_b64_e32 v[4:5], 0
	s_cbranch_vccz .LBB28_52
; %bb.50:
	s_andn2_b64 vcc, exec, s[0:1]
	s_cbranch_vccz .LBB28_53
.LBB28_51:
	v_lshl_add_u64 v[4:5], v[4:5], 0, v[0:1]
	v_cmp_lt_i64_e32 vcc, v[4:5], v[2:3]
	s_and_saveexec_b64 s[0:1], vcc
	s_cbranch_execnz .LBB28_54
	s_branch .LBB28_56
.LBB28_52:
	s_lshl_b64 s[16:17], s[2:3], 3
	s_add_u32 s16, s6, s16
	s_addc_u32 s17, s7, s17
	v_mov_b32_e32 v4, 0
	global_load_dwordx2 v[4:5], v4, s[16:17] offset:32
	s_waitcnt vmcnt(0)
	v_subrev_co_u32_e32 v4, vcc, s12, v4
	s_nop 1
	v_subbrev_co_u32_e32 v5, vcc, 0, v5, vcc
	s_andn2_b64 vcc, exec, s[0:1]
	s_cbranch_vccnz .LBB28_51
.LBB28_53:
	s_lshl_b64 s[0:1], s[2:3], 3
	s_add_u32 s0, s8, s0
	s_addc_u32 s1, s9, s1
	v_mov_b32_e32 v2, 0
	global_load_dwordx2 v[2:3], v2, s[0:1] offset:32
	s_waitcnt vmcnt(0)
	v_subrev_co_u32_e32 v2, vcc, s12, v2
	s_nop 1
	v_subbrev_co_u32_e32 v3, vcc, 0, v3, vcc
	v_lshl_add_u64 v[4:5], v[4:5], 0, v[0:1]
	v_cmp_lt_i64_e32 vcc, v[4:5], v[2:3]
	s_and_saveexec_b64 s[0:1], vcc
	s_cbranch_execz .LBB28_56
.LBB28_54:
	s_add_u32 s16, s14, s12
	s_addc_u32 s17, 0, 0
	v_lshl_add_u64 v[6:7], v[4:5], 3, s[10:11]
	s_mov_b64 s[14:15], 0
	v_mov_b64_e32 v[8:9], s[16:17]
	s_mov_b64 s[16:17], 0x100
	s_mov_b64 s[18:19], 0x800
.LBB28_55:                              ; =>This Inner Loop Header: Depth=1
	v_lshl_add_u64 v[4:5], v[4:5], 0, s[16:17]
	v_cmp_ge_i64_e32 vcc, v[4:5], v[2:3]
	global_store_dwordx2 v[6:7], v[8:9], off
	s_or_b64 s[14:15], vcc, s[14:15]
	v_lshl_add_u64 v[6:7], v[6:7], 0, s[18:19]
	s_andn2_b64 exec, exec, s[14:15]
	s_cbranch_execnz .LBB28_55
.LBB28_56:
	s_or_b64 exec, exec, s[0:1]
.LBB28_57:
	v_mov_b32_e32 v8, 0
	ds_read_b32 v2, v8 offset:20
	s_mov_b32 s15, 0
	s_waitcnt lgkmcnt(0)
	v_cmp_ne_u32_e32 vcc, 0, v2
	s_cbranch_vccz .LBB28_59
; %bb.58:
	ds_read_b32 v2, v8 offset:24
	s_waitcnt lgkmcnt(0)
	v_cmp_ne_u32_e32 vcc, 0, v2
	s_cbranch_vccnz .LBB28_75
	s_branch .LBB28_67
.LBB28_59:
	s_or_b32 s14, s2, 5
	v_mov_b64_e32 v[2:3], s[14:15]
	v_cmp_le_i64_e32 vcc, s[4:5], v[2:3]
	v_cmp_gt_i64_e64 s[0:1], s[4:5], v[2:3]
	v_mov_b64_e32 v[2:3], 0
	v_mov_b64_e32 v[4:5], 0
	s_cbranch_vccz .LBB28_62
; %bb.60:
	s_andn2_b64 vcc, exec, s[0:1]
	s_cbranch_vccz .LBB28_63
.LBB28_61:
	v_lshl_add_u64 v[4:5], v[4:5], 0, v[0:1]
	v_cmp_lt_i64_e32 vcc, v[4:5], v[2:3]
	s_and_saveexec_b64 s[0:1], vcc
	s_cbranch_execnz .LBB28_64
	s_branch .LBB28_66
.LBB28_62:
	s_lshl_b64 s[16:17], s[2:3], 3
	s_add_u32 s16, s6, s16
	s_addc_u32 s17, s7, s17
	v_mov_b32_e32 v4, 0
	global_load_dwordx2 v[4:5], v4, s[16:17] offset:40
	s_waitcnt vmcnt(0)
	v_subrev_co_u32_e32 v4, vcc, s12, v4
	s_nop 1
	v_subbrev_co_u32_e32 v5, vcc, 0, v5, vcc
	s_andn2_b64 vcc, exec, s[0:1]
	s_cbranch_vccnz .LBB28_61
.LBB28_63:
	s_lshl_b64 s[0:1], s[2:3], 3
	s_add_u32 s0, s8, s0
	s_addc_u32 s1, s9, s1
	v_mov_b32_e32 v2, 0
	global_load_dwordx2 v[2:3], v2, s[0:1] offset:40
	s_waitcnt vmcnt(0)
	v_subrev_co_u32_e32 v2, vcc, s12, v2
	s_nop 1
	v_subbrev_co_u32_e32 v3, vcc, 0, v3, vcc
	v_lshl_add_u64 v[4:5], v[4:5], 0, v[0:1]
	v_cmp_lt_i64_e32 vcc, v[4:5], v[2:3]
	s_and_saveexec_b64 s[0:1], vcc
	s_cbranch_execz .LBB28_66
.LBB28_64:
	s_add_u32 s16, s14, s12
	s_addc_u32 s17, 0, 0
	v_lshl_add_u64 v[6:7], v[4:5], 3, s[10:11]
	s_mov_b64 s[14:15], 0
	v_mov_b64_e32 v[10:11], s[16:17]
	s_mov_b64 s[16:17], 0x100
	s_mov_b64 s[18:19], 0x800
.LBB28_65:                              ; =>This Inner Loop Header: Depth=1
	v_lshl_add_u64 v[4:5], v[4:5], 0, s[16:17]
	v_cmp_ge_i64_e32 vcc, v[4:5], v[2:3]
	global_store_dwordx2 v[6:7], v[10:11], off
	s_or_b64 s[14:15], vcc, s[14:15]
	v_lshl_add_u64 v[6:7], v[6:7], 0, s[18:19]
	s_andn2_b64 exec, exec, s[14:15]
	s_cbranch_execnz .LBB28_65
.LBB28_66:
	s_or_b64 exec, exec, s[0:1]
	ds_read_b32 v2, v8 offset:24
	s_waitcnt lgkmcnt(0)
	v_cmp_ne_u32_e32 vcc, 0, v2
	s_cbranch_vccnz .LBB28_75
.LBB28_67:
	s_or_b32 s14, s2, 6
	s_mov_b32 s15, 0
	v_mov_b64_e32 v[2:3], s[14:15]
	v_cmp_le_i64_e32 vcc, s[4:5], v[2:3]
	v_cmp_gt_i64_e64 s[0:1], s[4:5], v[2:3]
	v_mov_b64_e32 v[2:3], 0
	v_mov_b64_e32 v[4:5], 0
	s_cbranch_vccz .LBB28_70
; %bb.68:
	s_andn2_b64 vcc, exec, s[0:1]
	s_cbranch_vccz .LBB28_71
.LBB28_69:
	v_lshl_add_u64 v[4:5], v[4:5], 0, v[0:1]
	v_cmp_lt_i64_e32 vcc, v[4:5], v[2:3]
	s_and_saveexec_b64 s[0:1], vcc
	s_cbranch_execnz .LBB28_72
	s_branch .LBB28_74
.LBB28_70:
	s_lshl_b64 s[16:17], s[2:3], 3
	s_add_u32 s16, s6, s16
	s_addc_u32 s17, s7, s17
	v_mov_b32_e32 v4, 0
	global_load_dwordx2 v[4:5], v4, s[16:17] offset:48
	s_waitcnt vmcnt(0)
	v_subrev_co_u32_e32 v4, vcc, s12, v4
	s_nop 1
	v_subbrev_co_u32_e32 v5, vcc, 0, v5, vcc
	s_andn2_b64 vcc, exec, s[0:1]
	s_cbranch_vccnz .LBB28_69
.LBB28_71:
	s_lshl_b64 s[0:1], s[2:3], 3
	s_add_u32 s0, s8, s0
	s_addc_u32 s1, s9, s1
	v_mov_b32_e32 v2, 0
	global_load_dwordx2 v[2:3], v2, s[0:1] offset:48
	s_waitcnt vmcnt(0)
	v_subrev_co_u32_e32 v2, vcc, s12, v2
	s_nop 1
	v_subbrev_co_u32_e32 v3, vcc, 0, v3, vcc
	v_lshl_add_u64 v[4:5], v[4:5], 0, v[0:1]
	v_cmp_lt_i64_e32 vcc, v[4:5], v[2:3]
	s_and_saveexec_b64 s[0:1], vcc
	s_cbranch_execz .LBB28_74
.LBB28_72:
	s_add_u32 s16, s14, s12
	s_addc_u32 s17, 0, 0
	v_lshl_add_u64 v[6:7], v[4:5], 3, s[10:11]
	s_mov_b64 s[14:15], 0
	v_mov_b64_e32 v[8:9], s[16:17]
	s_mov_b64 s[16:17], 0x100
	s_mov_b64 s[18:19], 0x800
.LBB28_73:                              ; =>This Inner Loop Header: Depth=1
	v_lshl_add_u64 v[4:5], v[4:5], 0, s[16:17]
	v_cmp_ge_i64_e32 vcc, v[4:5], v[2:3]
	global_store_dwordx2 v[6:7], v[8:9], off
	s_or_b64 s[14:15], vcc, s[14:15]
	v_lshl_add_u64 v[6:7], v[6:7], 0, s[18:19]
	s_andn2_b64 exec, exec, s[14:15]
	s_cbranch_execnz .LBB28_73
.LBB28_74:
	s_or_b64 exec, exec, s[0:1]
.LBB28_75:
	v_mov_b32_e32 v2, 0
	ds_read_b32 v2, v2 offset:28
	s_mov_b32 s15, 0
	s_waitcnt lgkmcnt(0)
	v_cmp_ne_u32_e32 vcc, 0, v2
	s_cbranch_vccnz .LBB28_83
; %bb.76:
	s_or_b32 s14, s2, 7
	v_mov_b64_e32 v[2:3], s[14:15]
	v_cmp_le_i64_e32 vcc, s[4:5], v[2:3]
	v_cmp_gt_i64_e64 s[0:1], s[4:5], v[2:3]
	v_mov_b64_e32 v[2:3], 0
	v_mov_b64_e32 v[4:5], 0
	s_cbranch_vccz .LBB28_79
; %bb.77:
	s_andn2_b64 vcc, exec, s[0:1]
	s_cbranch_vccz .LBB28_80
.LBB28_78:
	v_lshl_add_u64 v[0:1], v[4:5], 0, v[0:1]
	v_cmp_lt_i64_e32 vcc, v[0:1], v[2:3]
	s_and_saveexec_b64 s[0:1], vcc
	s_cbranch_execnz .LBB28_81
	s_branch .LBB28_83
.LBB28_79:
	s_lshl_b64 s[4:5], s[2:3], 3
	s_add_u32 s4, s6, s4
	s_addc_u32 s5, s7, s5
	v_mov_b32_e32 v4, 0
	global_load_dwordx2 v[4:5], v4, s[4:5] offset:56
	s_waitcnt vmcnt(0)
	v_subrev_co_u32_e32 v4, vcc, s12, v4
	s_nop 1
	v_subbrev_co_u32_e32 v5, vcc, 0, v5, vcc
	s_andn2_b64 vcc, exec, s[0:1]
	s_cbranch_vccnz .LBB28_78
.LBB28_80:
	s_lshl_b64 s[0:1], s[2:3], 3
	s_add_u32 s0, s8, s0
	s_addc_u32 s1, s9, s1
	v_mov_b32_e32 v2, 0
	global_load_dwordx2 v[2:3], v2, s[0:1] offset:56
	s_waitcnt vmcnt(0)
	v_subrev_co_u32_e32 v2, vcc, s12, v2
	s_nop 1
	v_subbrev_co_u32_e32 v3, vcc, 0, v3, vcc
	v_lshl_add_u64 v[0:1], v[4:5], 0, v[0:1]
	v_cmp_lt_i64_e32 vcc, v[0:1], v[2:3]
	s_and_saveexec_b64 s[0:1], vcc
	s_cbranch_execz .LBB28_83
.LBB28_81:
	s_add_u32 s2, s14, s12
	s_addc_u32 s3, 0, 0
	v_lshl_add_u64 v[4:5], v[0:1], 3, s[10:11]
	s_mov_b64 s[0:1], 0
	v_mov_b64_e32 v[6:7], s[2:3]
	s_mov_b64 s[2:3], 0x100
	s_mov_b64 s[4:5], 0x800
.LBB28_82:                              ; =>This Inner Loop Header: Depth=1
	v_lshl_add_u64 v[0:1], v[0:1], 0, s[2:3]
	v_cmp_ge_i64_e32 vcc, v[0:1], v[2:3]
	global_store_dwordx2 v[4:5], v[6:7], off
	s_or_b64 s[0:1], vcc, s[0:1]
	v_lshl_add_u64 v[4:5], v[4:5], 0, s[4:5]
	s_andn2_b64 exec, exec, s[0:1]
	s_cbranch_execnz .LBB28_82
.LBB28_83:
	s_endpgm
	.section	.rodata,"a",@progbits
	.p2align	6, 0x0
	.amdhsa_kernel _ZN9rocsparseL14csr2coo_kernelILj256ELj32EllEEvT2_PKT1_S4_PS1_21rocsparse_index_base_
		.amdhsa_group_segment_fixed_size 36
		.amdhsa_private_segment_fixed_size 0
		.amdhsa_kernarg_size 36
		.amdhsa_user_sgpr_count 2
		.amdhsa_user_sgpr_dispatch_ptr 0
		.amdhsa_user_sgpr_queue_ptr 0
		.amdhsa_user_sgpr_kernarg_segment_ptr 1
		.amdhsa_user_sgpr_dispatch_id 0
		.amdhsa_user_sgpr_kernarg_preload_length 0
		.amdhsa_user_sgpr_kernarg_preload_offset 0
		.amdhsa_user_sgpr_private_segment_size 0
		.amdhsa_uses_dynamic_stack 0
		.amdhsa_enable_private_segment 0
		.amdhsa_system_sgpr_workgroup_id_x 1
		.amdhsa_system_sgpr_workgroup_id_y 0
		.amdhsa_system_sgpr_workgroup_id_z 0
		.amdhsa_system_sgpr_workgroup_info 0
		.amdhsa_system_vgpr_workitem_id 0
		.amdhsa_next_free_vgpr 12
		.amdhsa_next_free_sgpr 22
		.amdhsa_accum_offset 12
		.amdhsa_reserve_vcc 1
		.amdhsa_float_round_mode_32 0
		.amdhsa_float_round_mode_16_64 0
		.amdhsa_float_denorm_mode_32 3
		.amdhsa_float_denorm_mode_16_64 3
		.amdhsa_dx10_clamp 1
		.amdhsa_ieee_mode 1
		.amdhsa_fp16_overflow 0
		.amdhsa_tg_split 0
		.amdhsa_exception_fp_ieee_invalid_op 0
		.amdhsa_exception_fp_denorm_src 0
		.amdhsa_exception_fp_ieee_div_zero 0
		.amdhsa_exception_fp_ieee_overflow 0
		.amdhsa_exception_fp_ieee_underflow 0
		.amdhsa_exception_fp_ieee_inexact 0
		.amdhsa_exception_int_div_zero 0
	.end_amdhsa_kernel
	.section	.text._ZN9rocsparseL14csr2coo_kernelILj256ELj32EllEEvT2_PKT1_S4_PS1_21rocsparse_index_base_,"axG",@progbits,_ZN9rocsparseL14csr2coo_kernelILj256ELj32EllEEvT2_PKT1_S4_PS1_21rocsparse_index_base_,comdat
.Lfunc_end28:
	.size	_ZN9rocsparseL14csr2coo_kernelILj256ELj32EllEEvT2_PKT1_S4_PS1_21rocsparse_index_base_, .Lfunc_end28-_ZN9rocsparseL14csr2coo_kernelILj256ELj32EllEEvT2_PKT1_S4_PS1_21rocsparse_index_base_
                                        ; -- End function
	.set _ZN9rocsparseL14csr2coo_kernelILj256ELj32EllEEvT2_PKT1_S4_PS1_21rocsparse_index_base_.num_vgpr, 12
	.set _ZN9rocsparseL14csr2coo_kernelILj256ELj32EllEEvT2_PKT1_S4_PS1_21rocsparse_index_base_.num_agpr, 0
	.set _ZN9rocsparseL14csr2coo_kernelILj256ELj32EllEEvT2_PKT1_S4_PS1_21rocsparse_index_base_.numbered_sgpr, 22
	.set _ZN9rocsparseL14csr2coo_kernelILj256ELj32EllEEvT2_PKT1_S4_PS1_21rocsparse_index_base_.num_named_barrier, 0
	.set _ZN9rocsparseL14csr2coo_kernelILj256ELj32EllEEvT2_PKT1_S4_PS1_21rocsparse_index_base_.private_seg_size, 0
	.set _ZN9rocsparseL14csr2coo_kernelILj256ELj32EllEEvT2_PKT1_S4_PS1_21rocsparse_index_base_.uses_vcc, 1
	.set _ZN9rocsparseL14csr2coo_kernelILj256ELj32EllEEvT2_PKT1_S4_PS1_21rocsparse_index_base_.uses_flat_scratch, 0
	.set _ZN9rocsparseL14csr2coo_kernelILj256ELj32EllEEvT2_PKT1_S4_PS1_21rocsparse_index_base_.has_dyn_sized_stack, 0
	.set _ZN9rocsparseL14csr2coo_kernelILj256ELj32EllEEvT2_PKT1_S4_PS1_21rocsparse_index_base_.has_recursion, 0
	.set _ZN9rocsparseL14csr2coo_kernelILj256ELj32EllEEvT2_PKT1_S4_PS1_21rocsparse_index_base_.has_indirect_call, 0
	.section	.AMDGPU.csdata,"",@progbits
; Kernel info:
; codeLenInByte = 2728
; TotalNumSgprs: 28
; NumVgprs: 12
; NumAgprs: 0
; TotalNumVgprs: 12
; ScratchSize: 0
; MemoryBound: 0
; FloatMode: 240
; IeeeMode: 1
; LDSByteSize: 36 bytes/workgroup (compile time only)
; SGPRBlocks: 3
; VGPRBlocks: 1
; NumSGPRsForWavesPerEU: 28
; NumVGPRsForWavesPerEU: 12
; AccumOffset: 12
; Occupancy: 8
; WaveLimiterHint : 0
; COMPUTE_PGM_RSRC2:SCRATCH_EN: 0
; COMPUTE_PGM_RSRC2:USER_SGPR: 2
; COMPUTE_PGM_RSRC2:TRAP_HANDLER: 0
; COMPUTE_PGM_RSRC2:TGID_X_EN: 1
; COMPUTE_PGM_RSRC2:TGID_Y_EN: 0
; COMPUTE_PGM_RSRC2:TGID_Z_EN: 0
; COMPUTE_PGM_RSRC2:TIDIG_COMP_CNT: 0
; COMPUTE_PGM_RSRC3_GFX90A:ACCUM_OFFSET: 2
; COMPUTE_PGM_RSRC3_GFX90A:TG_SPLIT: 0
	.section	.text._ZN9rocsparseL14csr2coo_kernelILj256ELj64EllEEvT2_PKT1_S4_PS1_21rocsparse_index_base_,"axG",@progbits,_ZN9rocsparseL14csr2coo_kernelILj256ELj64EllEEvT2_PKT1_S4_PS1_21rocsparse_index_base_,comdat
	.globl	_ZN9rocsparseL14csr2coo_kernelILj256ELj64EllEEvT2_PKT1_S4_PS1_21rocsparse_index_base_ ; -- Begin function _ZN9rocsparseL14csr2coo_kernelILj256ELj64EllEEvT2_PKT1_S4_PS1_21rocsparse_index_base_
	.p2align	8
	.type	_ZN9rocsparseL14csr2coo_kernelILj256ELj64EllEEvT2_PKT1_S4_PS1_21rocsparse_index_base_,@function
_ZN9rocsparseL14csr2coo_kernelILj256ELj64EllEEvT2_PKT1_S4_PS1_21rocsparse_index_base_: ; @_ZN9rocsparseL14csr2coo_kernelILj256ELj64EllEEvT2_PKT1_S4_PS1_21rocsparse_index_base_
; %bb.0:
	s_load_dwordx8 s[4:11], s[0:1], 0x0
	s_load_dword s12, s[0:1], 0x20
	v_mov_b32_e32 v1, 0
	v_lshrrev_b32_e32 v2, 6, v0
	s_lshl_b32 s2, s2, 2
	v_mov_b32_e32 v3, 1
	v_or_b32_e32 v4, s2, v2
	v_mov_b32_e32 v5, v1
	s_mov_b32 s3, 0
	ds_write_b32 v1, v3 offset:16
	s_waitcnt lgkmcnt(0)
	v_cmp_gt_i64_e32 vcc, s[4:5], v[4:5]
	v_mov_b64_e32 v[2:3], 0
	v_mov_b64_e32 v[6:7], 0
	s_barrier
	s_and_saveexec_b64 s[14:15], vcc
	s_cbranch_execz .LBB29_2
; %bb.1:
	v_lshl_add_u64 v[6:7], v[4:5], 3, s[6:7]
	global_load_dwordx2 v[6:7], v[6:7], off
	s_waitcnt vmcnt(0)
	v_subrev_co_u32_e64 v6, s[0:1], s12, v6
	s_nop 1
	v_subbrev_co_u32_e64 v7, s[0:1], 0, v7, s[0:1]
.LBB29_2:
	s_or_b64 exec, exec, s[14:15]
	s_and_saveexec_b64 s[0:1], vcc
	s_cbranch_execz .LBB29_4
; %bb.3:
	v_lshl_add_u64 v[2:3], v[4:5], 3, s[8:9]
	global_load_dwordx2 v[2:3], v[2:3], off
	s_waitcnt vmcnt(0)
	v_subrev_co_u32_e32 v2, vcc, s12, v2
	s_nop 1
	v_subbrev_co_u32_e32 v3, vcc, 0, v3, vcc
.LBB29_4:
	s_or_b64 exec, exec, s[0:1]
	v_sub_co_u32_e32 v8, vcc, v2, v6
	s_mov_b64 s[0:1], 0x201
	s_nop 0
	v_subb_co_u32_e32 v9, vcc, v3, v7, vcc
	v_cmp_gt_i64_e32 vcc, s[0:1], v[8:9]
	s_mov_b64 s[0:1], 0x200
	v_cmp_lt_i64_e64 s[0:1], s[0:1], v[8:9]
	s_and_saveexec_b64 s[14:15], s[0:1]
	s_xor_b64 s[0:1], exec, s[14:15]
; %bb.5:
	v_mov_b32_e32 v2, 0
	ds_write_b32 v2, v2 offset:16
                                        ; implicit-def: $vgpr6_vgpr7
                                        ; implicit-def: $vgpr2_vgpr3
                                        ; implicit-def: $vgpr4_vgpr5
; %bb.6:
	s_andn2_saveexec_b64 s[14:15], s[0:1]
	s_cbranch_execz .LBB29_11
; %bb.7:
	v_and_b32_e32 v8, 63, v0
	v_mov_b32_e32 v9, 0
	v_lshl_add_u64 v[6:7], v[6:7], 0, v[8:9]
	v_cmp_lt_i64_e64 s[0:1], v[6:7], v[2:3]
	s_and_saveexec_b64 s[16:17], s[0:1]
	s_cbranch_execz .LBB29_10
; %bb.8:
	s_mov_b32 s13, 0
	v_lshl_add_u64 v[4:5], v[4:5], 0, s[12:13]
	v_lshl_add_u64 v[8:9], v[6:7], 3, s[10:11]
	s_mov_b64 s[18:19], 0
	s_mov_b64 s[20:21], 0x200
.LBB29_9:                               ; =>This Inner Loop Header: Depth=1
	v_lshl_add_u64 v[6:7], v[6:7], 0, 64
	v_cmp_ge_i64_e64 s[0:1], v[6:7], v[2:3]
	global_store_dwordx2 v[8:9], v[4:5], off
	s_or_b64 s[18:19], s[0:1], s[18:19]
	v_lshl_add_u64 v[8:9], v[8:9], 0, s[20:21]
	s_andn2_b64 exec, exec, s[18:19]
	s_cbranch_execnz .LBB29_9
.LBB29_10:
	s_or_b64 exec, exec, s[16:17]
.LBB29_11:
	s_or_b64 exec, exec, s[14:15]
	v_lshrrev_b32_e32 v3, 4, v0
	v_cndmask_b32_e64 v2, 0, 1, vcc
	v_and_b32_e32 v3, 12, v3
	ds_write_b32 v3, v2
	v_mov_b32_e32 v2, 0
	s_waitcnt lgkmcnt(0)
	s_barrier
	ds_read_b32 v3, v2 offset:16
	s_waitcnt lgkmcnt(0)
	v_cmp_ne_u32_e32 vcc, 0, v3
	s_cbranch_vccnz .LBB29_47
; %bb.12:
	ds_read_b32 v2, v2
	s_waitcnt lgkmcnt(0)
	v_cmp_ne_u32_e32 vcc, 0, v2
	s_cbranch_vccnz .LBB29_21
; %bb.13:
	v_mov_b64_e32 v[2:3], s[2:3]
	v_cmp_le_i64_e32 vcc, s[4:5], v[2:3]
	v_cmp_gt_i64_e64 s[0:1], s[4:5], v[2:3]
	v_mov_b64_e32 v[2:3], 0
	v_mov_b64_e32 v[4:5], 0
	s_cbranch_vccz .LBB29_16
; %bb.14:
	s_andn2_b64 vcc, exec, s[0:1]
	s_cbranch_vccz .LBB29_17
.LBB29_15:
	v_lshl_add_u64 v[4:5], v[4:5], 0, v[0:1]
	v_cmp_lt_i64_e32 vcc, v[4:5], v[2:3]
	s_and_saveexec_b64 s[0:1], vcc
	s_cbranch_execnz .LBB29_18
	s_branch .LBB29_20
.LBB29_16:
	s_lshl_b64 s[14:15], s[2:3], 3
	s_add_u32 s14, s6, s14
	s_addc_u32 s15, s7, s15
	v_mov_b32_e32 v4, 0
	global_load_dwordx2 v[4:5], v4, s[14:15]
	s_waitcnt vmcnt(0)
	v_subrev_co_u32_e32 v4, vcc, s12, v4
	s_nop 1
	v_subbrev_co_u32_e32 v5, vcc, 0, v5, vcc
	s_andn2_b64 vcc, exec, s[0:1]
	s_cbranch_vccnz .LBB29_15
.LBB29_17:
	s_lshl_b64 s[0:1], s[2:3], 3
	s_add_u32 s0, s8, s0
	s_addc_u32 s1, s9, s1
	v_mov_b32_e32 v2, 0
	global_load_dwordx2 v[2:3], v2, s[0:1]
	s_waitcnt vmcnt(0)
	v_subrev_co_u32_e32 v2, vcc, s12, v2
	s_nop 1
	v_subbrev_co_u32_e32 v3, vcc, 0, v3, vcc
	v_lshl_add_u64 v[4:5], v[4:5], 0, v[0:1]
	v_cmp_lt_i64_e32 vcc, v[4:5], v[2:3]
	s_and_saveexec_b64 s[0:1], vcc
	s_cbranch_execz .LBB29_20
.LBB29_18:
	s_add_u32 s16, s2, s12
	s_addc_u32 s17, 0, 0
	v_lshl_add_u64 v[6:7], v[4:5], 3, s[10:11]
	s_mov_b64 s[14:15], 0
	v_mov_b64_e32 v[8:9], s[16:17]
	s_mov_b64 s[16:17], 0x100
	s_mov_b64 s[18:19], 0x800
.LBB29_19:                              ; =>This Inner Loop Header: Depth=1
	v_lshl_add_u64 v[4:5], v[4:5], 0, s[16:17]
	v_cmp_ge_i64_e32 vcc, v[4:5], v[2:3]
	global_store_dwordx2 v[6:7], v[8:9], off
	s_or_b64 s[14:15], vcc, s[14:15]
	v_lshl_add_u64 v[6:7], v[6:7], 0, s[18:19]
	s_andn2_b64 exec, exec, s[14:15]
	s_cbranch_execnz .LBB29_19
.LBB29_20:
	s_or_b64 exec, exec, s[0:1]
.LBB29_21:
	v_mov_b32_e32 v8, 0
	ds_read_b32 v2, v8 offset:4
	s_mov_b32 s15, 0
	s_waitcnt lgkmcnt(0)
	v_cmp_ne_u32_e32 vcc, 0, v2
	s_cbranch_vccz .LBB29_23
; %bb.22:
	ds_read_b32 v2, v8 offset:8
	s_waitcnt lgkmcnt(0)
	v_cmp_ne_u32_e32 vcc, 0, v2
	s_cbranch_vccnz .LBB29_39
	s_branch .LBB29_31
.LBB29_23:
	s_or_b32 s14, s2, 1
	v_mov_b64_e32 v[2:3], s[14:15]
	v_cmp_le_i64_e32 vcc, s[4:5], v[2:3]
	v_cmp_gt_i64_e64 s[0:1], s[4:5], v[2:3]
	v_mov_b64_e32 v[2:3], 0
	v_mov_b64_e32 v[4:5], 0
	s_cbranch_vccz .LBB29_26
; %bb.24:
	s_andn2_b64 vcc, exec, s[0:1]
	s_cbranch_vccz .LBB29_27
.LBB29_25:
	v_lshl_add_u64 v[4:5], v[4:5], 0, v[0:1]
	v_cmp_lt_i64_e32 vcc, v[4:5], v[2:3]
	s_and_saveexec_b64 s[0:1], vcc
	s_cbranch_execnz .LBB29_28
	s_branch .LBB29_30
.LBB29_26:
	s_lshl_b64 s[16:17], s[2:3], 3
	s_add_u32 s16, s6, s16
	s_addc_u32 s17, s7, s17
	v_mov_b32_e32 v4, 0
	global_load_dwordx2 v[4:5], v4, s[16:17] offset:8
	s_waitcnt vmcnt(0)
	v_subrev_co_u32_e32 v4, vcc, s12, v4
	s_nop 1
	v_subbrev_co_u32_e32 v5, vcc, 0, v5, vcc
	s_andn2_b64 vcc, exec, s[0:1]
	s_cbranch_vccnz .LBB29_25
.LBB29_27:
	s_lshl_b64 s[0:1], s[2:3], 3
	s_add_u32 s0, s8, s0
	s_addc_u32 s1, s9, s1
	v_mov_b32_e32 v2, 0
	global_load_dwordx2 v[2:3], v2, s[0:1] offset:8
	s_waitcnt vmcnt(0)
	v_subrev_co_u32_e32 v2, vcc, s12, v2
	s_nop 1
	v_subbrev_co_u32_e32 v3, vcc, 0, v3, vcc
	v_lshl_add_u64 v[4:5], v[4:5], 0, v[0:1]
	v_cmp_lt_i64_e32 vcc, v[4:5], v[2:3]
	s_and_saveexec_b64 s[0:1], vcc
	s_cbranch_execz .LBB29_30
.LBB29_28:
	s_add_u32 s16, s14, s12
	s_addc_u32 s17, 0, 0
	v_lshl_add_u64 v[6:7], v[4:5], 3, s[10:11]
	s_mov_b64 s[14:15], 0
	v_mov_b64_e32 v[10:11], s[16:17]
	s_mov_b64 s[16:17], 0x100
	s_mov_b64 s[18:19], 0x800
.LBB29_29:                              ; =>This Inner Loop Header: Depth=1
	v_lshl_add_u64 v[4:5], v[4:5], 0, s[16:17]
	v_cmp_ge_i64_e32 vcc, v[4:5], v[2:3]
	global_store_dwordx2 v[6:7], v[10:11], off
	s_or_b64 s[14:15], vcc, s[14:15]
	v_lshl_add_u64 v[6:7], v[6:7], 0, s[18:19]
	s_andn2_b64 exec, exec, s[14:15]
	s_cbranch_execnz .LBB29_29
.LBB29_30:
	s_or_b64 exec, exec, s[0:1]
	ds_read_b32 v2, v8 offset:8
	s_waitcnt lgkmcnt(0)
	v_cmp_ne_u32_e32 vcc, 0, v2
	s_cbranch_vccnz .LBB29_39
.LBB29_31:
	s_or_b32 s14, s2, 2
	s_mov_b32 s15, 0
	v_mov_b64_e32 v[2:3], s[14:15]
	v_cmp_le_i64_e32 vcc, s[4:5], v[2:3]
	v_cmp_gt_i64_e64 s[0:1], s[4:5], v[2:3]
	v_mov_b64_e32 v[2:3], 0
	v_mov_b64_e32 v[4:5], 0
	s_cbranch_vccz .LBB29_34
; %bb.32:
	s_andn2_b64 vcc, exec, s[0:1]
	s_cbranch_vccz .LBB29_35
.LBB29_33:
	v_lshl_add_u64 v[4:5], v[4:5], 0, v[0:1]
	v_cmp_lt_i64_e32 vcc, v[4:5], v[2:3]
	s_and_saveexec_b64 s[0:1], vcc
	s_cbranch_execnz .LBB29_36
	s_branch .LBB29_38
.LBB29_34:
	s_lshl_b64 s[16:17], s[2:3], 3
	s_add_u32 s16, s6, s16
	s_addc_u32 s17, s7, s17
	v_mov_b32_e32 v4, 0
	global_load_dwordx2 v[4:5], v4, s[16:17] offset:16
	s_waitcnt vmcnt(0)
	v_subrev_co_u32_e32 v4, vcc, s12, v4
	s_nop 1
	v_subbrev_co_u32_e32 v5, vcc, 0, v5, vcc
	s_andn2_b64 vcc, exec, s[0:1]
	s_cbranch_vccnz .LBB29_33
.LBB29_35:
	s_lshl_b64 s[0:1], s[2:3], 3
	s_add_u32 s0, s8, s0
	s_addc_u32 s1, s9, s1
	v_mov_b32_e32 v2, 0
	global_load_dwordx2 v[2:3], v2, s[0:1] offset:16
	s_waitcnt vmcnt(0)
	v_subrev_co_u32_e32 v2, vcc, s12, v2
	s_nop 1
	v_subbrev_co_u32_e32 v3, vcc, 0, v3, vcc
	v_lshl_add_u64 v[4:5], v[4:5], 0, v[0:1]
	v_cmp_lt_i64_e32 vcc, v[4:5], v[2:3]
	s_and_saveexec_b64 s[0:1], vcc
	s_cbranch_execz .LBB29_38
.LBB29_36:
	s_add_u32 s16, s14, s12
	s_addc_u32 s17, 0, 0
	v_lshl_add_u64 v[6:7], v[4:5], 3, s[10:11]
	s_mov_b64 s[14:15], 0
	v_mov_b64_e32 v[8:9], s[16:17]
	s_mov_b64 s[16:17], 0x100
	s_mov_b64 s[18:19], 0x800
.LBB29_37:                              ; =>This Inner Loop Header: Depth=1
	v_lshl_add_u64 v[4:5], v[4:5], 0, s[16:17]
	v_cmp_ge_i64_e32 vcc, v[4:5], v[2:3]
	global_store_dwordx2 v[6:7], v[8:9], off
	s_or_b64 s[14:15], vcc, s[14:15]
	v_lshl_add_u64 v[6:7], v[6:7], 0, s[18:19]
	s_andn2_b64 exec, exec, s[14:15]
	s_cbranch_execnz .LBB29_37
.LBB29_38:
	s_or_b64 exec, exec, s[0:1]
.LBB29_39:
	v_mov_b32_e32 v2, 0
	ds_read_b32 v2, v2 offset:12
	s_mov_b32 s15, 0
	s_waitcnt lgkmcnt(0)
	v_cmp_ne_u32_e32 vcc, 0, v2
	s_cbranch_vccnz .LBB29_47
; %bb.40:
	s_or_b32 s14, s2, 3
	v_mov_b64_e32 v[2:3], s[14:15]
	v_cmp_le_i64_e32 vcc, s[4:5], v[2:3]
	v_cmp_gt_i64_e64 s[0:1], s[4:5], v[2:3]
	v_mov_b64_e32 v[2:3], 0
	v_mov_b64_e32 v[4:5], 0
	s_cbranch_vccz .LBB29_43
; %bb.41:
	s_andn2_b64 vcc, exec, s[0:1]
	s_cbranch_vccz .LBB29_44
.LBB29_42:
	v_lshl_add_u64 v[0:1], v[4:5], 0, v[0:1]
	v_cmp_lt_i64_e32 vcc, v[0:1], v[2:3]
	s_and_saveexec_b64 s[0:1], vcc
	s_cbranch_execnz .LBB29_45
	s_branch .LBB29_47
.LBB29_43:
	s_lshl_b64 s[4:5], s[2:3], 3
	s_add_u32 s4, s6, s4
	s_addc_u32 s5, s7, s5
	v_mov_b32_e32 v4, 0
	global_load_dwordx2 v[4:5], v4, s[4:5] offset:24
	s_waitcnt vmcnt(0)
	v_subrev_co_u32_e32 v4, vcc, s12, v4
	s_nop 1
	v_subbrev_co_u32_e32 v5, vcc, 0, v5, vcc
	s_andn2_b64 vcc, exec, s[0:1]
	s_cbranch_vccnz .LBB29_42
.LBB29_44:
	s_lshl_b64 s[0:1], s[2:3], 3
	s_add_u32 s0, s8, s0
	s_addc_u32 s1, s9, s1
	v_mov_b32_e32 v2, 0
	global_load_dwordx2 v[2:3], v2, s[0:1] offset:24
	s_waitcnt vmcnt(0)
	v_subrev_co_u32_e32 v2, vcc, s12, v2
	s_nop 1
	v_subbrev_co_u32_e32 v3, vcc, 0, v3, vcc
	v_lshl_add_u64 v[0:1], v[4:5], 0, v[0:1]
	v_cmp_lt_i64_e32 vcc, v[0:1], v[2:3]
	s_and_saveexec_b64 s[0:1], vcc
	s_cbranch_execz .LBB29_47
.LBB29_45:
	s_add_u32 s2, s14, s12
	s_addc_u32 s3, 0, 0
	v_lshl_add_u64 v[4:5], v[0:1], 3, s[10:11]
	s_mov_b64 s[0:1], 0
	v_mov_b64_e32 v[6:7], s[2:3]
	s_mov_b64 s[2:3], 0x100
	s_mov_b64 s[4:5], 0x800
.LBB29_46:                              ; =>This Inner Loop Header: Depth=1
	v_lshl_add_u64 v[0:1], v[0:1], 0, s[2:3]
	v_cmp_ge_i64_e32 vcc, v[0:1], v[2:3]
	global_store_dwordx2 v[4:5], v[6:7], off
	s_or_b64 s[0:1], vcc, s[0:1]
	v_lshl_add_u64 v[4:5], v[4:5], 0, s[4:5]
	s_andn2_b64 exec, exec, s[0:1]
	s_cbranch_execnz .LBB29_46
.LBB29_47:
	s_endpgm
	.section	.rodata,"a",@progbits
	.p2align	6, 0x0
	.amdhsa_kernel _ZN9rocsparseL14csr2coo_kernelILj256ELj64EllEEvT2_PKT1_S4_PS1_21rocsparse_index_base_
		.amdhsa_group_segment_fixed_size 20
		.amdhsa_private_segment_fixed_size 0
		.amdhsa_kernarg_size 36
		.amdhsa_user_sgpr_count 2
		.amdhsa_user_sgpr_dispatch_ptr 0
		.amdhsa_user_sgpr_queue_ptr 0
		.amdhsa_user_sgpr_kernarg_segment_ptr 1
		.amdhsa_user_sgpr_dispatch_id 0
		.amdhsa_user_sgpr_kernarg_preload_length 0
		.amdhsa_user_sgpr_kernarg_preload_offset 0
		.amdhsa_user_sgpr_private_segment_size 0
		.amdhsa_uses_dynamic_stack 0
		.amdhsa_enable_private_segment 0
		.amdhsa_system_sgpr_workgroup_id_x 1
		.amdhsa_system_sgpr_workgroup_id_y 0
		.amdhsa_system_sgpr_workgroup_id_z 0
		.amdhsa_system_sgpr_workgroup_info 0
		.amdhsa_system_vgpr_workitem_id 0
		.amdhsa_next_free_vgpr 12
		.amdhsa_next_free_sgpr 22
		.amdhsa_accum_offset 12
		.amdhsa_reserve_vcc 1
		.amdhsa_float_round_mode_32 0
		.amdhsa_float_round_mode_16_64 0
		.amdhsa_float_denorm_mode_32 3
		.amdhsa_float_denorm_mode_16_64 3
		.amdhsa_dx10_clamp 1
		.amdhsa_ieee_mode 1
		.amdhsa_fp16_overflow 0
		.amdhsa_tg_split 0
		.amdhsa_exception_fp_ieee_invalid_op 0
		.amdhsa_exception_fp_denorm_src 0
		.amdhsa_exception_fp_ieee_div_zero 0
		.amdhsa_exception_fp_ieee_overflow 0
		.amdhsa_exception_fp_ieee_underflow 0
		.amdhsa_exception_fp_ieee_inexact 0
		.amdhsa_exception_int_div_zero 0
	.end_amdhsa_kernel
	.section	.text._ZN9rocsparseL14csr2coo_kernelILj256ELj64EllEEvT2_PKT1_S4_PS1_21rocsparse_index_base_,"axG",@progbits,_ZN9rocsparseL14csr2coo_kernelILj256ELj64EllEEvT2_PKT1_S4_PS1_21rocsparse_index_base_,comdat
.Lfunc_end29:
	.size	_ZN9rocsparseL14csr2coo_kernelILj256ELj64EllEEvT2_PKT1_S4_PS1_21rocsparse_index_base_, .Lfunc_end29-_ZN9rocsparseL14csr2coo_kernelILj256ELj64EllEEvT2_PKT1_S4_PS1_21rocsparse_index_base_
                                        ; -- End function
	.set _ZN9rocsparseL14csr2coo_kernelILj256ELj64EllEEvT2_PKT1_S4_PS1_21rocsparse_index_base_.num_vgpr, 12
	.set _ZN9rocsparseL14csr2coo_kernelILj256ELj64EllEEvT2_PKT1_S4_PS1_21rocsparse_index_base_.num_agpr, 0
	.set _ZN9rocsparseL14csr2coo_kernelILj256ELj64EllEEvT2_PKT1_S4_PS1_21rocsparse_index_base_.numbered_sgpr, 22
	.set _ZN9rocsparseL14csr2coo_kernelILj256ELj64EllEEvT2_PKT1_S4_PS1_21rocsparse_index_base_.num_named_barrier, 0
	.set _ZN9rocsparseL14csr2coo_kernelILj256ELj64EllEEvT2_PKT1_S4_PS1_21rocsparse_index_base_.private_seg_size, 0
	.set _ZN9rocsparseL14csr2coo_kernelILj256ELj64EllEEvT2_PKT1_S4_PS1_21rocsparse_index_base_.uses_vcc, 1
	.set _ZN9rocsparseL14csr2coo_kernelILj256ELj64EllEEvT2_PKT1_S4_PS1_21rocsparse_index_base_.uses_flat_scratch, 0
	.set _ZN9rocsparseL14csr2coo_kernelILj256ELj64EllEEvT2_PKT1_S4_PS1_21rocsparse_index_base_.has_dyn_sized_stack, 0
	.set _ZN9rocsparseL14csr2coo_kernelILj256ELj64EllEEvT2_PKT1_S4_PS1_21rocsparse_index_base_.has_recursion, 0
	.set _ZN9rocsparseL14csr2coo_kernelILj256ELj64EllEEvT2_PKT1_S4_PS1_21rocsparse_index_base_.has_indirect_call, 0
	.section	.AMDGPU.csdata,"",@progbits
; Kernel info:
; codeLenInByte = 1552
; TotalNumSgprs: 28
; NumVgprs: 12
; NumAgprs: 0
; TotalNumVgprs: 12
; ScratchSize: 0
; MemoryBound: 0
; FloatMode: 240
; IeeeMode: 1
; LDSByteSize: 20 bytes/workgroup (compile time only)
; SGPRBlocks: 3
; VGPRBlocks: 1
; NumSGPRsForWavesPerEU: 28
; NumVGPRsForWavesPerEU: 12
; AccumOffset: 12
; Occupancy: 8
; WaveLimiterHint : 0
; COMPUTE_PGM_RSRC2:SCRATCH_EN: 0
; COMPUTE_PGM_RSRC2:USER_SGPR: 2
; COMPUTE_PGM_RSRC2:TRAP_HANDLER: 0
; COMPUTE_PGM_RSRC2:TGID_X_EN: 1
; COMPUTE_PGM_RSRC2:TGID_Y_EN: 0
; COMPUTE_PGM_RSRC2:TGID_Z_EN: 0
; COMPUTE_PGM_RSRC2:TIDIG_COMP_CNT: 0
; COMPUTE_PGM_RSRC3_GFX90A:ACCUM_OFFSET: 2
; COMPUTE_PGM_RSRC3_GFX90A:TG_SPLIT: 0
	.section	.text._ZN9rocsparseL14csr2coo_kernelILj256ELj128EllEEvT2_PKT1_S4_PS1_21rocsparse_index_base_,"axG",@progbits,_ZN9rocsparseL14csr2coo_kernelILj256ELj128EllEEvT2_PKT1_S4_PS1_21rocsparse_index_base_,comdat
	.globl	_ZN9rocsparseL14csr2coo_kernelILj256ELj128EllEEvT2_PKT1_S4_PS1_21rocsparse_index_base_ ; -- Begin function _ZN9rocsparseL14csr2coo_kernelILj256ELj128EllEEvT2_PKT1_S4_PS1_21rocsparse_index_base_
	.p2align	8
	.type	_ZN9rocsparseL14csr2coo_kernelILj256ELj128EllEEvT2_PKT1_S4_PS1_21rocsparse_index_base_,@function
_ZN9rocsparseL14csr2coo_kernelILj256ELj128EllEEvT2_PKT1_S4_PS1_21rocsparse_index_base_: ; @_ZN9rocsparseL14csr2coo_kernelILj256ELj128EllEEvT2_PKT1_S4_PS1_21rocsparse_index_base_
; %bb.0:
	s_load_dwordx8 s[4:11], s[0:1], 0x0
	s_load_dword s12, s[0:1], 0x20
	v_mov_b32_e32 v1, 0
	v_lshrrev_b32_e32 v2, 7, v0
	s_lshl_b32 s2, s2, 1
	v_mov_b32_e32 v3, 1
	v_or_b32_e32 v4, s2, v2
	v_mov_b32_e32 v5, v1
	s_mov_b32 s3, 0
	ds_write_b32 v1, v3 offset:8
	s_waitcnt lgkmcnt(0)
	v_cmp_gt_i64_e32 vcc, s[4:5], v[4:5]
	v_mov_b64_e32 v[2:3], 0
	v_mov_b64_e32 v[6:7], 0
	s_barrier
	s_and_saveexec_b64 s[14:15], vcc
	s_cbranch_execz .LBB30_2
; %bb.1:
	v_lshl_add_u64 v[6:7], v[4:5], 3, s[6:7]
	global_load_dwordx2 v[6:7], v[6:7], off
	s_waitcnt vmcnt(0)
	v_subrev_co_u32_e64 v6, s[0:1], s12, v6
	s_nop 1
	v_subbrev_co_u32_e64 v7, s[0:1], 0, v7, s[0:1]
.LBB30_2:
	s_or_b64 exec, exec, s[14:15]
	s_and_saveexec_b64 s[0:1], vcc
	s_cbranch_execz .LBB30_4
; %bb.3:
	v_lshl_add_u64 v[2:3], v[4:5], 3, s[8:9]
	global_load_dwordx2 v[2:3], v[2:3], off
	s_waitcnt vmcnt(0)
	v_subrev_co_u32_e32 v2, vcc, s12, v2
	s_nop 1
	v_subbrev_co_u32_e32 v3, vcc, 0, v3, vcc
.LBB30_4:
	s_or_b64 exec, exec, s[0:1]
	v_sub_co_u32_e32 v8, vcc, v2, v6
	s_mov_b64 s[0:1], 0x401
	s_nop 0
	v_subb_co_u32_e32 v9, vcc, v3, v7, vcc
	v_cmp_gt_i64_e32 vcc, s[0:1], v[8:9]
	s_mov_b64 s[0:1], 0x400
	v_cmp_lt_i64_e64 s[0:1], s[0:1], v[8:9]
	s_and_saveexec_b64 s[14:15], s[0:1]
	s_xor_b64 s[0:1], exec, s[14:15]
; %bb.5:
	v_mov_b32_e32 v2, 0
	ds_write_b32 v2, v2 offset:8
                                        ; implicit-def: $vgpr6_vgpr7
                                        ; implicit-def: $vgpr2_vgpr3
                                        ; implicit-def: $vgpr4_vgpr5
; %bb.6:
	s_andn2_saveexec_b64 s[14:15], s[0:1]
	s_cbranch_execz .LBB30_11
; %bb.7:
	v_and_b32_e32 v8, 0x7f, v0
	v_mov_b32_e32 v9, 0
	v_lshl_add_u64 v[6:7], v[6:7], 0, v[8:9]
	v_cmp_lt_i64_e64 s[0:1], v[6:7], v[2:3]
	s_and_saveexec_b64 s[16:17], s[0:1]
	s_cbranch_execz .LBB30_10
; %bb.8:
	s_mov_b32 s13, 0
	v_lshl_add_u64 v[4:5], v[4:5], 0, s[12:13]
	v_lshl_add_u64 v[8:9], v[6:7], 3, s[10:11]
	s_mov_b64 s[18:19], 0
	s_mov_b64 s[20:21], 0x80
	;; [unrolled: 1-line block ×3, first 2 shown]
.LBB30_9:                               ; =>This Inner Loop Header: Depth=1
	v_lshl_add_u64 v[6:7], v[6:7], 0, s[20:21]
	v_cmp_ge_i64_e64 s[0:1], v[6:7], v[2:3]
	global_store_dwordx2 v[8:9], v[4:5], off
	s_or_b64 s[18:19], s[0:1], s[18:19]
	v_lshl_add_u64 v[8:9], v[8:9], 0, s[22:23]
	s_andn2_b64 exec, exec, s[18:19]
	s_cbranch_execnz .LBB30_9
.LBB30_10:
	s_or_b64 exec, exec, s[16:17]
.LBB30_11:
	s_or_b64 exec, exec, s[14:15]
	v_lshrrev_b32_e32 v3, 5, v0
	v_cndmask_b32_e64 v2, 0, 1, vcc
	v_and_b32_e32 v3, 4, v3
	ds_write_b32 v3, v2
	v_mov_b32_e32 v2, 0
	s_waitcnt lgkmcnt(0)
	s_barrier
	ds_read_b32 v3, v2 offset:8
	s_waitcnt lgkmcnt(0)
	v_cmp_ne_u32_e32 vcc, 0, v3
	s_cbranch_vccnz .LBB30_29
; %bb.12:
	ds_read_b32 v2, v2
	s_waitcnt lgkmcnt(0)
	v_cmp_ne_u32_e32 vcc, 0, v2
	s_cbranch_vccnz .LBB30_21
; %bb.13:
	v_mov_b64_e32 v[2:3], s[2:3]
	v_cmp_le_i64_e32 vcc, s[4:5], v[2:3]
	v_cmp_gt_i64_e64 s[0:1], s[4:5], v[2:3]
	v_mov_b64_e32 v[2:3], 0
	v_mov_b64_e32 v[4:5], 0
	s_cbranch_vccz .LBB30_16
; %bb.14:
	s_andn2_b64 vcc, exec, s[0:1]
	s_cbranch_vccz .LBB30_17
.LBB30_15:
	v_lshl_add_u64 v[4:5], v[4:5], 0, v[0:1]
	v_cmp_lt_i64_e32 vcc, v[4:5], v[2:3]
	s_and_saveexec_b64 s[0:1], vcc
	s_cbranch_execnz .LBB30_18
	s_branch .LBB30_20
.LBB30_16:
	s_lshl_b64 s[14:15], s[2:3], 3
	s_add_u32 s14, s6, s14
	s_addc_u32 s15, s7, s15
	v_mov_b32_e32 v4, 0
	global_load_dwordx2 v[4:5], v4, s[14:15]
	s_waitcnt vmcnt(0)
	v_subrev_co_u32_e32 v4, vcc, s12, v4
	s_nop 1
	v_subbrev_co_u32_e32 v5, vcc, 0, v5, vcc
	s_andn2_b64 vcc, exec, s[0:1]
	s_cbranch_vccnz .LBB30_15
.LBB30_17:
	s_lshl_b64 s[0:1], s[2:3], 3
	s_add_u32 s0, s8, s0
	s_addc_u32 s1, s9, s1
	v_mov_b32_e32 v2, 0
	global_load_dwordx2 v[2:3], v2, s[0:1]
	s_waitcnt vmcnt(0)
	v_subrev_co_u32_e32 v2, vcc, s12, v2
	s_nop 1
	v_subbrev_co_u32_e32 v3, vcc, 0, v3, vcc
	v_lshl_add_u64 v[4:5], v[4:5], 0, v[0:1]
	v_cmp_lt_i64_e32 vcc, v[4:5], v[2:3]
	s_and_saveexec_b64 s[0:1], vcc
	s_cbranch_execz .LBB30_20
.LBB30_18:
	s_add_u32 s16, s2, s12
	s_addc_u32 s17, 0, 0
	v_lshl_add_u64 v[6:7], v[4:5], 3, s[10:11]
	s_mov_b64 s[14:15], 0
	v_mov_b64_e32 v[8:9], s[16:17]
	s_mov_b64 s[16:17], 0x100
	s_mov_b64 s[18:19], 0x800
.LBB30_19:                              ; =>This Inner Loop Header: Depth=1
	v_lshl_add_u64 v[4:5], v[4:5], 0, s[16:17]
	v_cmp_ge_i64_e32 vcc, v[4:5], v[2:3]
	global_store_dwordx2 v[6:7], v[8:9], off
	s_or_b64 s[14:15], vcc, s[14:15]
	v_lshl_add_u64 v[6:7], v[6:7], 0, s[18:19]
	s_andn2_b64 exec, exec, s[14:15]
	s_cbranch_execnz .LBB30_19
.LBB30_20:
	s_or_b64 exec, exec, s[0:1]
.LBB30_21:
	v_mov_b32_e32 v2, 0
	ds_read_b32 v2, v2 offset:4
	s_mov_b32 s15, 0
	s_waitcnt lgkmcnt(0)
	v_cmp_ne_u32_e32 vcc, 0, v2
	s_cbranch_vccnz .LBB30_29
; %bb.22:
	s_or_b32 s14, s2, 1
	v_mov_b64_e32 v[2:3], s[14:15]
	v_cmp_le_i64_e32 vcc, s[4:5], v[2:3]
	v_cmp_gt_i64_e64 s[0:1], s[4:5], v[2:3]
	v_mov_b64_e32 v[2:3], 0
	v_mov_b64_e32 v[4:5], 0
	s_cbranch_vccz .LBB30_25
; %bb.23:
	s_andn2_b64 vcc, exec, s[0:1]
	s_cbranch_vccz .LBB30_26
.LBB30_24:
	v_lshl_add_u64 v[0:1], v[4:5], 0, v[0:1]
	v_cmp_lt_i64_e32 vcc, v[0:1], v[2:3]
	s_and_saveexec_b64 s[0:1], vcc
	s_cbranch_execnz .LBB30_27
	s_branch .LBB30_29
.LBB30_25:
	s_lshl_b64 s[4:5], s[2:3], 3
	s_add_u32 s4, s6, s4
	s_addc_u32 s5, s7, s5
	v_mov_b32_e32 v4, 0
	global_load_dwordx2 v[4:5], v4, s[4:5] offset:8
	s_waitcnt vmcnt(0)
	v_subrev_co_u32_e32 v4, vcc, s12, v4
	s_nop 1
	v_subbrev_co_u32_e32 v5, vcc, 0, v5, vcc
	s_andn2_b64 vcc, exec, s[0:1]
	s_cbranch_vccnz .LBB30_24
.LBB30_26:
	s_lshl_b64 s[0:1], s[2:3], 3
	s_add_u32 s0, s8, s0
	s_addc_u32 s1, s9, s1
	v_mov_b32_e32 v2, 0
	global_load_dwordx2 v[2:3], v2, s[0:1] offset:8
	s_waitcnt vmcnt(0)
	v_subrev_co_u32_e32 v2, vcc, s12, v2
	s_nop 1
	v_subbrev_co_u32_e32 v3, vcc, 0, v3, vcc
	v_lshl_add_u64 v[0:1], v[4:5], 0, v[0:1]
	v_cmp_lt_i64_e32 vcc, v[0:1], v[2:3]
	s_and_saveexec_b64 s[0:1], vcc
	s_cbranch_execz .LBB30_29
.LBB30_27:
	s_add_u32 s2, s14, s12
	s_addc_u32 s3, 0, 0
	v_lshl_add_u64 v[4:5], v[0:1], 3, s[10:11]
	s_mov_b64 s[0:1], 0
	v_mov_b64_e32 v[6:7], s[2:3]
	s_mov_b64 s[2:3], 0x100
	s_mov_b64 s[4:5], 0x800
.LBB30_28:                              ; =>This Inner Loop Header: Depth=1
	v_lshl_add_u64 v[0:1], v[0:1], 0, s[2:3]
	v_cmp_ge_i64_e32 vcc, v[0:1], v[2:3]
	global_store_dwordx2 v[4:5], v[6:7], off
	s_or_b64 s[0:1], vcc, s[0:1]
	v_lshl_add_u64 v[4:5], v[4:5], 0, s[4:5]
	s_andn2_b64 exec, exec, s[0:1]
	s_cbranch_execnz .LBB30_28
.LBB30_29:
	s_endpgm
	.section	.rodata,"a",@progbits
	.p2align	6, 0x0
	.amdhsa_kernel _ZN9rocsparseL14csr2coo_kernelILj256ELj128EllEEvT2_PKT1_S4_PS1_21rocsparse_index_base_
		.amdhsa_group_segment_fixed_size 12
		.amdhsa_private_segment_fixed_size 0
		.amdhsa_kernarg_size 36
		.amdhsa_user_sgpr_count 2
		.amdhsa_user_sgpr_dispatch_ptr 0
		.amdhsa_user_sgpr_queue_ptr 0
		.amdhsa_user_sgpr_kernarg_segment_ptr 1
		.amdhsa_user_sgpr_dispatch_id 0
		.amdhsa_user_sgpr_kernarg_preload_length 0
		.amdhsa_user_sgpr_kernarg_preload_offset 0
		.amdhsa_user_sgpr_private_segment_size 0
		.amdhsa_uses_dynamic_stack 0
		.amdhsa_enable_private_segment 0
		.amdhsa_system_sgpr_workgroup_id_x 1
		.amdhsa_system_sgpr_workgroup_id_y 0
		.amdhsa_system_sgpr_workgroup_id_z 0
		.amdhsa_system_sgpr_workgroup_info 0
		.amdhsa_system_vgpr_workitem_id 0
		.amdhsa_next_free_vgpr 10
		.amdhsa_next_free_sgpr 24
		.amdhsa_accum_offset 12
		.amdhsa_reserve_vcc 1
		.amdhsa_float_round_mode_32 0
		.amdhsa_float_round_mode_16_64 0
		.amdhsa_float_denorm_mode_32 3
		.amdhsa_float_denorm_mode_16_64 3
		.amdhsa_dx10_clamp 1
		.amdhsa_ieee_mode 1
		.amdhsa_fp16_overflow 0
		.amdhsa_tg_split 0
		.amdhsa_exception_fp_ieee_invalid_op 0
		.amdhsa_exception_fp_denorm_src 0
		.amdhsa_exception_fp_ieee_div_zero 0
		.amdhsa_exception_fp_ieee_overflow 0
		.amdhsa_exception_fp_ieee_underflow 0
		.amdhsa_exception_fp_ieee_inexact 0
		.amdhsa_exception_int_div_zero 0
	.end_amdhsa_kernel
	.section	.text._ZN9rocsparseL14csr2coo_kernelILj256ELj128EllEEvT2_PKT1_S4_PS1_21rocsparse_index_base_,"axG",@progbits,_ZN9rocsparseL14csr2coo_kernelILj256ELj128EllEEvT2_PKT1_S4_PS1_21rocsparse_index_base_,comdat
.Lfunc_end30:
	.size	_ZN9rocsparseL14csr2coo_kernelILj256ELj128EllEEvT2_PKT1_S4_PS1_21rocsparse_index_base_, .Lfunc_end30-_ZN9rocsparseL14csr2coo_kernelILj256ELj128EllEEvT2_PKT1_S4_PS1_21rocsparse_index_base_
                                        ; -- End function
	.set _ZN9rocsparseL14csr2coo_kernelILj256ELj128EllEEvT2_PKT1_S4_PS1_21rocsparse_index_base_.num_vgpr, 10
	.set _ZN9rocsparseL14csr2coo_kernelILj256ELj128EllEEvT2_PKT1_S4_PS1_21rocsparse_index_base_.num_agpr, 0
	.set _ZN9rocsparseL14csr2coo_kernelILj256ELj128EllEEvT2_PKT1_S4_PS1_21rocsparse_index_base_.numbered_sgpr, 24
	.set _ZN9rocsparseL14csr2coo_kernelILj256ELj128EllEEvT2_PKT1_S4_PS1_21rocsparse_index_base_.num_named_barrier, 0
	.set _ZN9rocsparseL14csr2coo_kernelILj256ELj128EllEEvT2_PKT1_S4_PS1_21rocsparse_index_base_.private_seg_size, 0
	.set _ZN9rocsparseL14csr2coo_kernelILj256ELj128EllEEvT2_PKT1_S4_PS1_21rocsparse_index_base_.uses_vcc, 1
	.set _ZN9rocsparseL14csr2coo_kernelILj256ELj128EllEEvT2_PKT1_S4_PS1_21rocsparse_index_base_.uses_flat_scratch, 0
	.set _ZN9rocsparseL14csr2coo_kernelILj256ELj128EllEEvT2_PKT1_S4_PS1_21rocsparse_index_base_.has_dyn_sized_stack, 0
	.set _ZN9rocsparseL14csr2coo_kernelILj256ELj128EllEEvT2_PKT1_S4_PS1_21rocsparse_index_base_.has_recursion, 0
	.set _ZN9rocsparseL14csr2coo_kernelILj256ELj128EllEEvT2_PKT1_S4_PS1_21rocsparse_index_base_.has_indirect_call, 0
	.section	.AMDGPU.csdata,"",@progbits
; Kernel info:
; codeLenInByte = 976
; TotalNumSgprs: 30
; NumVgprs: 10
; NumAgprs: 0
; TotalNumVgprs: 10
; ScratchSize: 0
; MemoryBound: 0
; FloatMode: 240
; IeeeMode: 1
; LDSByteSize: 12 bytes/workgroup (compile time only)
; SGPRBlocks: 3
; VGPRBlocks: 1
; NumSGPRsForWavesPerEU: 30
; NumVGPRsForWavesPerEU: 10
; AccumOffset: 12
; Occupancy: 8
; WaveLimiterHint : 0
; COMPUTE_PGM_RSRC2:SCRATCH_EN: 0
; COMPUTE_PGM_RSRC2:USER_SGPR: 2
; COMPUTE_PGM_RSRC2:TRAP_HANDLER: 0
; COMPUTE_PGM_RSRC2:TGID_X_EN: 1
; COMPUTE_PGM_RSRC2:TGID_Y_EN: 0
; COMPUTE_PGM_RSRC2:TGID_Z_EN: 0
; COMPUTE_PGM_RSRC2:TIDIG_COMP_CNT: 0
; COMPUTE_PGM_RSRC3_GFX90A:ACCUM_OFFSET: 2
; COMPUTE_PGM_RSRC3_GFX90A:TG_SPLIT: 0
	.section	.text._ZN9rocsparseL14csr2coo_kernelILj256ELj256EllEEvT2_PKT1_S4_PS1_21rocsparse_index_base_,"axG",@progbits,_ZN9rocsparseL14csr2coo_kernelILj256ELj256EllEEvT2_PKT1_S4_PS1_21rocsparse_index_base_,comdat
	.globl	_ZN9rocsparseL14csr2coo_kernelILj256ELj256EllEEvT2_PKT1_S4_PS1_21rocsparse_index_base_ ; -- Begin function _ZN9rocsparseL14csr2coo_kernelILj256ELj256EllEEvT2_PKT1_S4_PS1_21rocsparse_index_base_
	.p2align	8
	.type	_ZN9rocsparseL14csr2coo_kernelILj256ELj256EllEEvT2_PKT1_S4_PS1_21rocsparse_index_base_,@function
_ZN9rocsparseL14csr2coo_kernelILj256ELj256EllEEvT2_PKT1_S4_PS1_21rocsparse_index_base_: ; @_ZN9rocsparseL14csr2coo_kernelILj256ELj256EllEEvT2_PKT1_S4_PS1_21rocsparse_index_base_
; %bb.0:
	s_load_dwordx8 s[4:11], s[0:1], 0x0
	s_load_dword s12, s[0:1], 0x20
	v_mov_b32_e32 v1, 0
	v_mov_b32_e32 v2, 1
	s_mov_b32 s3, 0
	ds_write_b32 v1, v2 offset:4
	s_waitcnt lgkmcnt(0)
	v_mov_b64_e32 v[2:3], s[4:5]
	v_mov_b64_e32 v[4:5], s[2:3]
	v_cmp_lt_i64_e32 vcc, s[2:3], v[2:3]
	v_mov_b64_e32 v[2:3], 0
	v_mov_b64_e32 v[6:7], 0
	s_barrier
	s_and_saveexec_b64 s[14:15], vcc
	s_cbranch_execz .LBB31_2
; %bb.1:
	v_lshl_add_u64 v[6:7], v[4:5], 3, s[6:7]
	global_load_dwordx2 v[6:7], v[6:7], off
	s_waitcnt vmcnt(0)
	v_subrev_co_u32_e64 v6, s[0:1], s12, v6
	s_nop 1
	v_subbrev_co_u32_e64 v7, s[0:1], 0, v7, s[0:1]
.LBB31_2:
	s_or_b64 exec, exec, s[14:15]
	s_and_saveexec_b64 s[0:1], vcc
	s_cbranch_execz .LBB31_4
; %bb.3:
	v_lshl_add_u64 v[2:3], v[4:5], 3, s[8:9]
	global_load_dwordx2 v[2:3], v[2:3], off
	s_waitcnt vmcnt(0)
	v_subrev_co_u32_e32 v2, vcc, s12, v2
	s_nop 1
	v_subbrev_co_u32_e32 v3, vcc, 0, v3, vcc
.LBB31_4:
	s_or_b64 exec, exec, s[0:1]
	v_sub_co_u32_e32 v8, vcc, v2, v6
	s_mov_b64 s[0:1], 0x801
	s_nop 0
	v_subb_co_u32_e32 v9, vcc, v3, v7, vcc
	v_cmp_gt_i64_e32 vcc, s[0:1], v[8:9]
	s_mov_b64 s[0:1], 0x800
	v_cmp_lt_i64_e64 s[0:1], s[0:1], v[8:9]
	s_and_saveexec_b64 s[14:15], s[0:1]
	s_xor_b64 s[0:1], exec, s[14:15]
; %bb.5:
	v_mov_b32_e32 v2, 0
	ds_write_b32 v2, v2 offset:4
                                        ; implicit-def: $vgpr6_vgpr7
                                        ; implicit-def: $vgpr2_vgpr3
                                        ; implicit-def: $vgpr4_vgpr5
; %bb.6:
	s_andn2_saveexec_b64 s[14:15], s[0:1]
	s_cbranch_execz .LBB31_11
; %bb.7:
	v_lshl_add_u64 v[6:7], v[6:7], 0, v[0:1]
	v_cmp_lt_i64_e64 s[0:1], v[6:7], v[2:3]
	s_and_saveexec_b64 s[16:17], s[0:1]
	s_cbranch_execz .LBB31_10
; %bb.8:
	s_mov_b32 s13, 0
	v_lshl_add_u64 v[4:5], v[4:5], 0, s[12:13]
	v_lshl_add_u64 v[8:9], v[6:7], 3, s[10:11]
	s_mov_b64 s[18:19], 0
	s_mov_b64 s[20:21], 0x100
	;; [unrolled: 1-line block ×3, first 2 shown]
.LBB31_9:                               ; =>This Inner Loop Header: Depth=1
	v_lshl_add_u64 v[6:7], v[6:7], 0, s[20:21]
	v_cmp_ge_i64_e64 s[0:1], v[6:7], v[2:3]
	global_store_dwordx2 v[8:9], v[4:5], off
	s_or_b64 s[18:19], s[0:1], s[18:19]
	v_lshl_add_u64 v[8:9], v[8:9], 0, s[22:23]
	s_andn2_b64 exec, exec, s[18:19]
	s_cbranch_execnz .LBB31_9
.LBB31_10:
	s_or_b64 exec, exec, s[16:17]
.LBB31_11:
	s_or_b64 exec, exec, s[14:15]
	v_cndmask_b32_e64 v3, 0, 1, vcc
	v_mov_b32_e32 v2, 0
	ds_write_b32 v2, v3
	s_waitcnt lgkmcnt(0)
	s_barrier
	ds_read_b32 v3, v2 offset:4
	s_waitcnt lgkmcnt(0)
	v_cmp_ne_u32_e32 vcc, 0, v3
	s_cbranch_vccnz .LBB31_20
; %bb.12:
	ds_read_b32 v2, v2
	s_waitcnt lgkmcnt(0)
	v_cmp_ne_u32_e32 vcc, 0, v2
	s_cbranch_vccnz .LBB31_20
; %bb.13:
	v_mov_b64_e32 v[2:3], s[2:3]
	v_cmp_le_i64_e32 vcc, s[4:5], v[2:3]
	v_cmp_gt_i64_e64 s[0:1], s[4:5], v[2:3]
	v_mov_b64_e32 v[2:3], 0
	v_mov_b64_e32 v[4:5], 0
	s_cbranch_vccz .LBB31_16
; %bb.14:
	s_andn2_b64 vcc, exec, s[0:1]
	s_cbranch_vccz .LBB31_17
.LBB31_15:
	v_lshl_add_u64 v[0:1], v[4:5], 0, v[0:1]
	v_cmp_lt_i64_e32 vcc, v[0:1], v[2:3]
	s_and_saveexec_b64 s[0:1], vcc
	s_cbranch_execnz .LBB31_18
	s_branch .LBB31_20
.LBB31_16:
	s_lshl_b64 s[4:5], s[2:3], 3
	s_add_u32 s4, s6, s4
	s_addc_u32 s5, s7, s5
	v_mov_b32_e32 v4, 0
	global_load_dwordx2 v[4:5], v4, s[4:5]
	s_waitcnt vmcnt(0)
	v_subrev_co_u32_e32 v4, vcc, s12, v4
	s_nop 1
	v_subbrev_co_u32_e32 v5, vcc, 0, v5, vcc
	s_andn2_b64 vcc, exec, s[0:1]
	s_cbranch_vccnz .LBB31_15
.LBB31_17:
	s_lshl_b64 s[0:1], s[2:3], 3
	s_add_u32 s0, s8, s0
	s_addc_u32 s1, s9, s1
	v_mov_b32_e32 v2, 0
	global_load_dwordx2 v[2:3], v2, s[0:1]
	s_waitcnt vmcnt(0)
	v_subrev_co_u32_e32 v2, vcc, s12, v2
	s_nop 1
	v_subbrev_co_u32_e32 v3, vcc, 0, v3, vcc
	v_lshl_add_u64 v[0:1], v[4:5], 0, v[0:1]
	v_cmp_lt_i64_e32 vcc, v[0:1], v[2:3]
	s_and_saveexec_b64 s[0:1], vcc
	s_cbranch_execz .LBB31_20
.LBB31_18:
	s_add_u32 s2, s12, s2
	s_addc_u32 s3, 0, 0
	v_lshl_add_u64 v[4:5], v[0:1], 3, s[10:11]
	s_mov_b64 s[0:1], 0
	v_mov_b64_e32 v[6:7], s[2:3]
	s_mov_b64 s[2:3], 0x100
	s_mov_b64 s[4:5], 0x800
.LBB31_19:                              ; =>This Inner Loop Header: Depth=1
	v_lshl_add_u64 v[0:1], v[0:1], 0, s[2:3]
	v_cmp_ge_i64_e32 vcc, v[0:1], v[2:3]
	global_store_dwordx2 v[4:5], v[6:7], off
	s_or_b64 s[0:1], vcc, s[0:1]
	v_lshl_add_u64 v[4:5], v[4:5], 0, s[4:5]
	s_andn2_b64 exec, exec, s[0:1]
	s_cbranch_execnz .LBB31_19
.LBB31_20:
	s_endpgm
	.section	.rodata,"a",@progbits
	.p2align	6, 0x0
	.amdhsa_kernel _ZN9rocsparseL14csr2coo_kernelILj256ELj256EllEEvT2_PKT1_S4_PS1_21rocsparse_index_base_
		.amdhsa_group_segment_fixed_size 8
		.amdhsa_private_segment_fixed_size 0
		.amdhsa_kernarg_size 36
		.amdhsa_user_sgpr_count 2
		.amdhsa_user_sgpr_dispatch_ptr 0
		.amdhsa_user_sgpr_queue_ptr 0
		.amdhsa_user_sgpr_kernarg_segment_ptr 1
		.amdhsa_user_sgpr_dispatch_id 0
		.amdhsa_user_sgpr_kernarg_preload_length 0
		.amdhsa_user_sgpr_kernarg_preload_offset 0
		.amdhsa_user_sgpr_private_segment_size 0
		.amdhsa_uses_dynamic_stack 0
		.amdhsa_enable_private_segment 0
		.amdhsa_system_sgpr_workgroup_id_x 1
		.amdhsa_system_sgpr_workgroup_id_y 0
		.amdhsa_system_sgpr_workgroup_id_z 0
		.amdhsa_system_sgpr_workgroup_info 0
		.amdhsa_system_vgpr_workitem_id 0
		.amdhsa_next_free_vgpr 10
		.amdhsa_next_free_sgpr 24
		.amdhsa_accum_offset 12
		.amdhsa_reserve_vcc 1
		.amdhsa_float_round_mode_32 0
		.amdhsa_float_round_mode_16_64 0
		.amdhsa_float_denorm_mode_32 3
		.amdhsa_float_denorm_mode_16_64 3
		.amdhsa_dx10_clamp 1
		.amdhsa_ieee_mode 1
		.amdhsa_fp16_overflow 0
		.amdhsa_tg_split 0
		.amdhsa_exception_fp_ieee_invalid_op 0
		.amdhsa_exception_fp_denorm_src 0
		.amdhsa_exception_fp_ieee_div_zero 0
		.amdhsa_exception_fp_ieee_overflow 0
		.amdhsa_exception_fp_ieee_underflow 0
		.amdhsa_exception_fp_ieee_inexact 0
		.amdhsa_exception_int_div_zero 0
	.end_amdhsa_kernel
	.section	.text._ZN9rocsparseL14csr2coo_kernelILj256ELj256EllEEvT2_PKT1_S4_PS1_21rocsparse_index_base_,"axG",@progbits,_ZN9rocsparseL14csr2coo_kernelILj256ELj256EllEEvT2_PKT1_S4_PS1_21rocsparse_index_base_,comdat
.Lfunc_end31:
	.size	_ZN9rocsparseL14csr2coo_kernelILj256ELj256EllEEvT2_PKT1_S4_PS1_21rocsparse_index_base_, .Lfunc_end31-_ZN9rocsparseL14csr2coo_kernelILj256ELj256EllEEvT2_PKT1_S4_PS1_21rocsparse_index_base_
                                        ; -- End function
	.set _ZN9rocsparseL14csr2coo_kernelILj256ELj256EllEEvT2_PKT1_S4_PS1_21rocsparse_index_base_.num_vgpr, 10
	.set _ZN9rocsparseL14csr2coo_kernelILj256ELj256EllEEvT2_PKT1_S4_PS1_21rocsparse_index_base_.num_agpr, 0
	.set _ZN9rocsparseL14csr2coo_kernelILj256ELj256EllEEvT2_PKT1_S4_PS1_21rocsparse_index_base_.numbered_sgpr, 24
	.set _ZN9rocsparseL14csr2coo_kernelILj256ELj256EllEEvT2_PKT1_S4_PS1_21rocsparse_index_base_.num_named_barrier, 0
	.set _ZN9rocsparseL14csr2coo_kernelILj256ELj256EllEEvT2_PKT1_S4_PS1_21rocsparse_index_base_.private_seg_size, 0
	.set _ZN9rocsparseL14csr2coo_kernelILj256ELj256EllEEvT2_PKT1_S4_PS1_21rocsparse_index_base_.uses_vcc, 1
	.set _ZN9rocsparseL14csr2coo_kernelILj256ELj256EllEEvT2_PKT1_S4_PS1_21rocsparse_index_base_.uses_flat_scratch, 0
	.set _ZN9rocsparseL14csr2coo_kernelILj256ELj256EllEEvT2_PKT1_S4_PS1_21rocsparse_index_base_.has_dyn_sized_stack, 0
	.set _ZN9rocsparseL14csr2coo_kernelILj256ELj256EllEEvT2_PKT1_S4_PS1_21rocsparse_index_base_.has_recursion, 0
	.set _ZN9rocsparseL14csr2coo_kernelILj256ELj256EllEEvT2_PKT1_S4_PS1_21rocsparse_index_base_.has_indirect_call, 0
	.section	.AMDGPU.csdata,"",@progbits
; Kernel info:
; codeLenInByte = 664
; TotalNumSgprs: 30
; NumVgprs: 10
; NumAgprs: 0
; TotalNumVgprs: 10
; ScratchSize: 0
; MemoryBound: 0
; FloatMode: 240
; IeeeMode: 1
; LDSByteSize: 8 bytes/workgroup (compile time only)
; SGPRBlocks: 3
; VGPRBlocks: 1
; NumSGPRsForWavesPerEU: 30
; NumVGPRsForWavesPerEU: 10
; AccumOffset: 12
; Occupancy: 8
; WaveLimiterHint : 0
; COMPUTE_PGM_RSRC2:SCRATCH_EN: 0
; COMPUTE_PGM_RSRC2:USER_SGPR: 2
; COMPUTE_PGM_RSRC2:TRAP_HANDLER: 0
; COMPUTE_PGM_RSRC2:TGID_X_EN: 1
; COMPUTE_PGM_RSRC2:TGID_Y_EN: 0
; COMPUTE_PGM_RSRC2:TGID_Z_EN: 0
; COMPUTE_PGM_RSRC2:TIDIG_COMP_CNT: 0
; COMPUTE_PGM_RSRC3_GFX90A:ACCUM_OFFSET: 2
; COMPUTE_PGM_RSRC3_GFX90A:TG_SPLIT: 0
	.section	.AMDGPU.gpr_maximums,"",@progbits
	.set amdgpu.max_num_vgpr, 0
	.set amdgpu.max_num_agpr, 0
	.set amdgpu.max_num_sgpr, 0
	.section	.AMDGPU.csdata,"",@progbits
	.type	__hip_cuid_b5cc67298b0a7f4,@object ; @__hip_cuid_b5cc67298b0a7f4
	.section	.bss,"aw",@nobits
	.globl	__hip_cuid_b5cc67298b0a7f4
__hip_cuid_b5cc67298b0a7f4:
	.byte	0                               ; 0x0
	.size	__hip_cuid_b5cc67298b0a7f4, 1

	.ident	"AMD clang version 22.0.0git (https://github.com/RadeonOpenCompute/llvm-project roc-7.2.4 26084 f58b06dce1f9c15707c5f808fd002e18c2accf7e)"
	.section	".note.GNU-stack","",@progbits
	.addrsig
	.addrsig_sym __hip_cuid_b5cc67298b0a7f4
	.amdgpu_metadata
---
amdhsa.kernels:
  - .agpr_count:     0
    .args:
      - .offset:         0
        .size:           4
        .value_kind:     by_value
      - .address_space:  global
        .offset:         8
        .size:           8
        .value_kind:     global_buffer
      - .address_space:  global
        .offset:         16
        .size:           8
        .value_kind:     global_buffer
      - .address_space:  global
        .offset:         24
        .size:           8
        .value_kind:     global_buffer
      - .offset:         32
        .size:           4
        .value_kind:     by_value
    .group_segment_fixed_size: 516
    .kernarg_segment_align: 8
    .kernarg_segment_size: 36
    .language:       OpenCL C
    .language_version:
      - 2
      - 0
    .max_flat_workgroup_size: 256
    .name:           _ZN9rocsparseL14csr2coo_kernelILj256ELj2EiiEEvT2_PKT1_S4_PS1_21rocsparse_index_base_
    .private_segment_fixed_size: 0
    .sgpr_count:     29
    .sgpr_spill_count: 0
    .symbol:         _ZN9rocsparseL14csr2coo_kernelILj256ELj2EiiEEvT2_PKT1_S4_PS1_21rocsparse_index_base_.kd
    .uniform_work_group_size: 1
    .uses_dynamic_stack: false
    .vgpr_count:     16
    .vgpr_spill_count: 0
    .wavefront_size: 64
  - .agpr_count:     0
    .args:
      - .offset:         0
        .size:           4
        .value_kind:     by_value
      - .address_space:  global
        .offset:         8
        .size:           8
        .value_kind:     global_buffer
      - .address_space:  global
        .offset:         16
        .size:           8
        .value_kind:     global_buffer
      - .address_space:  global
        .offset:         24
        .size:           8
        .value_kind:     global_buffer
      - .offset:         32
        .size:           4
        .value_kind:     by_value
    .group_segment_fixed_size: 260
    .kernarg_segment_align: 8
    .kernarg_segment_size: 36
    .language:       OpenCL C
    .language_version:
      - 2
      - 0
    .max_flat_workgroup_size: 256
    .name:           _ZN9rocsparseL14csr2coo_kernelILj256ELj4EiiEEvT2_PKT1_S4_PS1_21rocsparse_index_base_
    .private_segment_fixed_size: 0
    .sgpr_count:     29
    .sgpr_spill_count: 0
    .symbol:         _ZN9rocsparseL14csr2coo_kernelILj256ELj4EiiEEvT2_PKT1_S4_PS1_21rocsparse_index_base_.kd
    .uniform_work_group_size: 1
    .uses_dynamic_stack: false
    .vgpr_count:     16
    .vgpr_spill_count: 0
    .wavefront_size: 64
  - .agpr_count:     0
    .args:
      - .offset:         0
        .size:           4
        .value_kind:     by_value
      - .address_space:  global
        .offset:         8
        .size:           8
        .value_kind:     global_buffer
      - .address_space:  global
        .offset:         16
        .size:           8
        .value_kind:     global_buffer
      - .address_space:  global
        .offset:         24
        .size:           8
        .value_kind:     global_buffer
      - .offset:         32
        .size:           4
        .value_kind:     by_value
    .group_segment_fixed_size: 132
    .kernarg_segment_align: 8
    .kernarg_segment_size: 36
    .language:       OpenCL C
    .language_version:
      - 2
      - 0
    .max_flat_workgroup_size: 256
    .name:           _ZN9rocsparseL14csr2coo_kernelILj256ELj8EiiEEvT2_PKT1_S4_PS1_21rocsparse_index_base_
    .private_segment_fixed_size: 0
    .sgpr_count:     29
    .sgpr_spill_count: 0
    .symbol:         _ZN9rocsparseL14csr2coo_kernelILj256ELj8EiiEEvT2_PKT1_S4_PS1_21rocsparse_index_base_.kd
    .uniform_work_group_size: 1
    .uses_dynamic_stack: false
    .vgpr_count:     16
    .vgpr_spill_count: 0
    .wavefront_size: 64
  - .agpr_count:     0
    .args:
      - .offset:         0
        .size:           4
        .value_kind:     by_value
      - .address_space:  global
        .offset:         8
        .size:           8
        .value_kind:     global_buffer
      - .address_space:  global
        .offset:         16
        .size:           8
        .value_kind:     global_buffer
      - .address_space:  global
        .offset:         24
        .size:           8
        .value_kind:     global_buffer
      - .offset:         32
        .size:           4
        .value_kind:     by_value
    .group_segment_fixed_size: 68
    .kernarg_segment_align: 8
    .kernarg_segment_size: 36
    .language:       OpenCL C
    .language_version:
      - 2
      - 0
    .max_flat_workgroup_size: 256
    .name:           _ZN9rocsparseL14csr2coo_kernelILj256ELj16EiiEEvT2_PKT1_S4_PS1_21rocsparse_index_base_
    .private_segment_fixed_size: 0
    .sgpr_count:     30
    .sgpr_spill_count: 0
    .symbol:         _ZN9rocsparseL14csr2coo_kernelILj256ELj16EiiEEvT2_PKT1_S4_PS1_21rocsparse_index_base_.kd
    .uniform_work_group_size: 1
    .uses_dynamic_stack: false
    .vgpr_count:     16
    .vgpr_spill_count: 0
    .wavefront_size: 64
  - .agpr_count:     0
    .args:
      - .offset:         0
        .size:           4
        .value_kind:     by_value
      - .address_space:  global
        .offset:         8
        .size:           8
        .value_kind:     global_buffer
      - .address_space:  global
        .offset:         16
        .size:           8
        .value_kind:     global_buffer
      - .address_space:  global
        .offset:         24
        .size:           8
        .value_kind:     global_buffer
      - .offset:         32
        .size:           4
        .value_kind:     by_value
    .group_segment_fixed_size: 36
    .kernarg_segment_align: 8
    .kernarg_segment_size: 36
    .language:       OpenCL C
    .language_version:
      - 2
      - 0
    .max_flat_workgroup_size: 256
    .name:           _ZN9rocsparseL14csr2coo_kernelILj256ELj32EiiEEvT2_PKT1_S4_PS1_21rocsparse_index_base_
    .private_segment_fixed_size: 0
    .sgpr_count:     30
    .sgpr_spill_count: 0
    .symbol:         _ZN9rocsparseL14csr2coo_kernelILj256ELj32EiiEEvT2_PKT1_S4_PS1_21rocsparse_index_base_.kd
    .uniform_work_group_size: 1
    .uses_dynamic_stack: false
    .vgpr_count:     16
    .vgpr_spill_count: 0
    .wavefront_size: 64
  - .agpr_count:     0
    .args:
      - .offset:         0
        .size:           4
        .value_kind:     by_value
      - .address_space:  global
        .offset:         8
        .size:           8
        .value_kind:     global_buffer
      - .address_space:  global
        .offset:         16
        .size:           8
        .value_kind:     global_buffer
      - .address_space:  global
        .offset:         24
        .size:           8
        .value_kind:     global_buffer
      - .offset:         32
        .size:           4
        .value_kind:     by_value
    .group_segment_fixed_size: 20
    .kernarg_segment_align: 8
    .kernarg_segment_size: 36
    .language:       OpenCL C
    .language_version:
      - 2
      - 0
    .max_flat_workgroup_size: 256
    .name:           _ZN9rocsparseL14csr2coo_kernelILj256ELj64EiiEEvT2_PKT1_S4_PS1_21rocsparse_index_base_
    .private_segment_fixed_size: 0
    .sgpr_count:     30
    .sgpr_spill_count: 0
    .symbol:         _ZN9rocsparseL14csr2coo_kernelILj256ELj64EiiEEvT2_PKT1_S4_PS1_21rocsparse_index_base_.kd
    .uniform_work_group_size: 1
    .uses_dynamic_stack: false
    .vgpr_count:     16
    .vgpr_spill_count: 0
    .wavefront_size: 64
  - .agpr_count:     0
    .args:
      - .offset:         0
        .size:           4
        .value_kind:     by_value
      - .address_space:  global
        .offset:         8
        .size:           8
        .value_kind:     global_buffer
      - .address_space:  global
        .offset:         16
        .size:           8
        .value_kind:     global_buffer
      - .address_space:  global
        .offset:         24
        .size:           8
        .value_kind:     global_buffer
      - .offset:         32
        .size:           4
        .value_kind:     by_value
    .group_segment_fixed_size: 12
    .kernarg_segment_align: 8
    .kernarg_segment_size: 36
    .language:       OpenCL C
    .language_version:
      - 2
      - 0
    .max_flat_workgroup_size: 256
    .name:           _ZN9rocsparseL14csr2coo_kernelILj256ELj128EiiEEvT2_PKT1_S4_PS1_21rocsparse_index_base_
    .private_segment_fixed_size: 0
    .sgpr_count:     30
    .sgpr_spill_count: 0
    .symbol:         _ZN9rocsparseL14csr2coo_kernelILj256ELj128EiiEEvT2_PKT1_S4_PS1_21rocsparse_index_base_.kd
    .uniform_work_group_size: 1
    .uses_dynamic_stack: false
    .vgpr_count:     16
    .vgpr_spill_count: 0
    .wavefront_size: 64
  - .agpr_count:     0
    .args:
      - .offset:         0
        .size:           4
        .value_kind:     by_value
      - .address_space:  global
        .offset:         8
        .size:           8
        .value_kind:     global_buffer
      - .address_space:  global
        .offset:         16
        .size:           8
        .value_kind:     global_buffer
      - .address_space:  global
        .offset:         24
        .size:           8
        .value_kind:     global_buffer
      - .offset:         32
        .size:           4
        .value_kind:     by_value
    .group_segment_fixed_size: 8
    .kernarg_segment_align: 8
    .kernarg_segment_size: 36
    .language:       OpenCL C
    .language_version:
      - 2
      - 0
    .max_flat_workgroup_size: 256
    .name:           _ZN9rocsparseL14csr2coo_kernelILj256ELj256EiiEEvT2_PKT1_S4_PS1_21rocsparse_index_base_
    .private_segment_fixed_size: 0
    .sgpr_count:     30
    .sgpr_spill_count: 0
    .symbol:         _ZN9rocsparseL14csr2coo_kernelILj256ELj256EiiEEvT2_PKT1_S4_PS1_21rocsparse_index_base_.kd
    .uniform_work_group_size: 1
    .uses_dynamic_stack: false
    .vgpr_count:     14
    .vgpr_spill_count: 0
    .wavefront_size: 64
  - .agpr_count:     0
    .args:
      - .offset:         0
        .size:           4
        .value_kind:     by_value
      - .address_space:  global
        .offset:         8
        .size:           8
        .value_kind:     global_buffer
      - .address_space:  global
        .offset:         16
        .size:           8
        .value_kind:     global_buffer
      - .address_space:  global
        .offset:         24
        .size:           8
        .value_kind:     global_buffer
      - .offset:         32
        .size:           4
        .value_kind:     by_value
    .group_segment_fixed_size: 516
    .kernarg_segment_align: 8
    .kernarg_segment_size: 36
    .language:       OpenCL C
    .language_version:
      - 2
      - 0
    .max_flat_workgroup_size: 256
    .name:           _ZN9rocsparseL14csr2coo_kernelILj256ELj2EliEEvT2_PKT1_S4_PS1_21rocsparse_index_base_
    .private_segment_fixed_size: 0
    .sgpr_count:     31
    .sgpr_spill_count: 0
    .symbol:         _ZN9rocsparseL14csr2coo_kernelILj256ELj2EliEEvT2_PKT1_S4_PS1_21rocsparse_index_base_.kd
    .uniform_work_group_size: 1
    .uses_dynamic_stack: false
    .vgpr_count:     10
    .vgpr_spill_count: 0
    .wavefront_size: 64
  - .agpr_count:     0
    .args:
      - .offset:         0
        .size:           4
        .value_kind:     by_value
      - .address_space:  global
        .offset:         8
        .size:           8
        .value_kind:     global_buffer
      - .address_space:  global
        .offset:         16
        .size:           8
        .value_kind:     global_buffer
      - .address_space:  global
        .offset:         24
        .size:           8
        .value_kind:     global_buffer
      - .offset:         32
        .size:           4
        .value_kind:     by_value
    .group_segment_fixed_size: 260
    .kernarg_segment_align: 8
    .kernarg_segment_size: 36
    .language:       OpenCL C
    .language_version:
      - 2
      - 0
    .max_flat_workgroup_size: 256
    .name:           _ZN9rocsparseL14csr2coo_kernelILj256ELj4EliEEvT2_PKT1_S4_PS1_21rocsparse_index_base_
    .private_segment_fixed_size: 0
    .sgpr_count:     31
    .sgpr_spill_count: 0
    .symbol:         _ZN9rocsparseL14csr2coo_kernelILj256ELj4EliEEvT2_PKT1_S4_PS1_21rocsparse_index_base_.kd
    .uniform_work_group_size: 1
    .uses_dynamic_stack: false
    .vgpr_count:     10
    .vgpr_spill_count: 0
    .wavefront_size: 64
  - .agpr_count:     0
    .args:
      - .offset:         0
        .size:           4
        .value_kind:     by_value
      - .address_space:  global
        .offset:         8
        .size:           8
        .value_kind:     global_buffer
      - .address_space:  global
        .offset:         16
        .size:           8
        .value_kind:     global_buffer
      - .address_space:  global
        .offset:         24
        .size:           8
        .value_kind:     global_buffer
      - .offset:         32
        .size:           4
        .value_kind:     by_value
    .group_segment_fixed_size: 132
    .kernarg_segment_align: 8
    .kernarg_segment_size: 36
    .language:       OpenCL C
    .language_version:
      - 2
      - 0
    .max_flat_workgroup_size: 256
    .name:           _ZN9rocsparseL14csr2coo_kernelILj256ELj8EliEEvT2_PKT1_S4_PS1_21rocsparse_index_base_
    .private_segment_fixed_size: 0
    .sgpr_count:     31
    .sgpr_spill_count: 0
    .symbol:         _ZN9rocsparseL14csr2coo_kernelILj256ELj8EliEEvT2_PKT1_S4_PS1_21rocsparse_index_base_.kd
    .uniform_work_group_size: 1
    .uses_dynamic_stack: false
    .vgpr_count:     10
    .vgpr_spill_count: 0
    .wavefront_size: 64
  - .agpr_count:     0
    .args:
      - .offset:         0
        .size:           4
        .value_kind:     by_value
      - .address_space:  global
        .offset:         8
        .size:           8
        .value_kind:     global_buffer
      - .address_space:  global
        .offset:         16
        .size:           8
        .value_kind:     global_buffer
      - .address_space:  global
        .offset:         24
        .size:           8
        .value_kind:     global_buffer
      - .offset:         32
        .size:           4
        .value_kind:     by_value
    .group_segment_fixed_size: 68
    .kernarg_segment_align: 8
    .kernarg_segment_size: 36
    .language:       OpenCL C
    .language_version:
      - 2
      - 0
    .max_flat_workgroup_size: 256
    .name:           _ZN9rocsparseL14csr2coo_kernelILj256ELj16EliEEvT2_PKT1_S4_PS1_21rocsparse_index_base_
    .private_segment_fixed_size: 0
    .sgpr_count:     26
    .sgpr_spill_count: 0
    .symbol:         _ZN9rocsparseL14csr2coo_kernelILj256ELj16EliEEvT2_PKT1_S4_PS1_21rocsparse_index_base_.kd
    .uniform_work_group_size: 1
    .uses_dynamic_stack: false
    .vgpr_count:     10
    .vgpr_spill_count: 0
    .wavefront_size: 64
  - .agpr_count:     0
    .args:
      - .offset:         0
        .size:           4
        .value_kind:     by_value
      - .address_space:  global
        .offset:         8
        .size:           8
        .value_kind:     global_buffer
      - .address_space:  global
        .offset:         16
        .size:           8
        .value_kind:     global_buffer
      - .address_space:  global
        .offset:         24
        .size:           8
        .value_kind:     global_buffer
      - .offset:         32
        .size:           4
        .value_kind:     by_value
    .group_segment_fixed_size: 36
    .kernarg_segment_align: 8
    .kernarg_segment_size: 36
    .language:       OpenCL C
    .language_version:
      - 2
      - 0
    .max_flat_workgroup_size: 256
    .name:           _ZN9rocsparseL14csr2coo_kernelILj256ELj32EliEEvT2_PKT1_S4_PS1_21rocsparse_index_base_
    .private_segment_fixed_size: 0
    .sgpr_count:     26
    .sgpr_spill_count: 0
    .symbol:         _ZN9rocsparseL14csr2coo_kernelILj256ELj32EliEEvT2_PKT1_S4_PS1_21rocsparse_index_base_.kd
    .uniform_work_group_size: 1
    .uses_dynamic_stack: false
    .vgpr_count:     10
    .vgpr_spill_count: 0
    .wavefront_size: 64
  - .agpr_count:     0
    .args:
      - .offset:         0
        .size:           4
        .value_kind:     by_value
      - .address_space:  global
        .offset:         8
        .size:           8
        .value_kind:     global_buffer
      - .address_space:  global
        .offset:         16
        .size:           8
        .value_kind:     global_buffer
      - .address_space:  global
        .offset:         24
        .size:           8
        .value_kind:     global_buffer
      - .offset:         32
        .size:           4
        .value_kind:     by_value
    .group_segment_fixed_size: 20
    .kernarg_segment_align: 8
    .kernarg_segment_size: 36
    .language:       OpenCL C
    .language_version:
      - 2
      - 0
    .max_flat_workgroup_size: 256
    .name:           _ZN9rocsparseL14csr2coo_kernelILj256ELj64EliEEvT2_PKT1_S4_PS1_21rocsparse_index_base_
    .private_segment_fixed_size: 0
    .sgpr_count:     26
    .sgpr_spill_count: 0
    .symbol:         _ZN9rocsparseL14csr2coo_kernelILj256ELj64EliEEvT2_PKT1_S4_PS1_21rocsparse_index_base_.kd
    .uniform_work_group_size: 1
    .uses_dynamic_stack: false
    .vgpr_count:     10
    .vgpr_spill_count: 0
    .wavefront_size: 64
  - .agpr_count:     0
    .args:
      - .offset:         0
        .size:           4
        .value_kind:     by_value
      - .address_space:  global
        .offset:         8
        .size:           8
        .value_kind:     global_buffer
      - .address_space:  global
        .offset:         16
        .size:           8
        .value_kind:     global_buffer
      - .address_space:  global
        .offset:         24
        .size:           8
        .value_kind:     global_buffer
      - .offset:         32
        .size:           4
        .value_kind:     by_value
    .group_segment_fixed_size: 12
    .kernarg_segment_align: 8
    .kernarg_segment_size: 36
    .language:       OpenCL C
    .language_version:
      - 2
      - 0
    .max_flat_workgroup_size: 256
    .name:           _ZN9rocsparseL14csr2coo_kernelILj256ELj128EliEEvT2_PKT1_S4_PS1_21rocsparse_index_base_
    .private_segment_fixed_size: 0
    .sgpr_count:     28
    .sgpr_spill_count: 0
    .symbol:         _ZN9rocsparseL14csr2coo_kernelILj256ELj128EliEEvT2_PKT1_S4_PS1_21rocsparse_index_base_.kd
    .uniform_work_group_size: 1
    .uses_dynamic_stack: false
    .vgpr_count:     10
    .vgpr_spill_count: 0
    .wavefront_size: 64
  - .agpr_count:     0
    .args:
      - .offset:         0
        .size:           4
        .value_kind:     by_value
      - .address_space:  global
        .offset:         8
        .size:           8
        .value_kind:     global_buffer
      - .address_space:  global
        .offset:         16
        .size:           8
        .value_kind:     global_buffer
      - .address_space:  global
        .offset:         24
        .size:           8
        .value_kind:     global_buffer
      - .offset:         32
        .size:           4
        .value_kind:     by_value
    .group_segment_fixed_size: 8
    .kernarg_segment_align: 8
    .kernarg_segment_size: 36
    .language:       OpenCL C
    .language_version:
      - 2
      - 0
    .max_flat_workgroup_size: 256
    .name:           _ZN9rocsparseL14csr2coo_kernelILj256ELj256EliEEvT2_PKT1_S4_PS1_21rocsparse_index_base_
    .private_segment_fixed_size: 0
    .sgpr_count:     28
    .sgpr_spill_count: 0
    .symbol:         _ZN9rocsparseL14csr2coo_kernelILj256ELj256EliEEvT2_PKT1_S4_PS1_21rocsparse_index_base_.kd
    .uniform_work_group_size: 1
    .uses_dynamic_stack: false
    .vgpr_count:     10
    .vgpr_spill_count: 0
    .wavefront_size: 64
  - .agpr_count:     0
    .args:
      - .offset:         0
        .size:           8
        .value_kind:     by_value
      - .address_space:  global
        .offset:         8
        .size:           8
        .value_kind:     global_buffer
      - .address_space:  global
        .offset:         16
        .size:           8
        .value_kind:     global_buffer
      - .address_space:  global
        .offset:         24
        .size:           8
        .value_kind:     global_buffer
      - .offset:         32
        .size:           4
        .value_kind:     by_value
    .group_segment_fixed_size: 516
    .kernarg_segment_align: 8
    .kernarg_segment_size: 36
    .language:       OpenCL C
    .language_version:
      - 2
      - 0
    .max_flat_workgroup_size: 256
    .name:           _ZN9rocsparseL14csr2coo_kernelILj256ELj2EilEEvT2_PKT1_S4_PS1_21rocsparse_index_base_
    .private_segment_fixed_size: 0
    .sgpr_count:     28
    .sgpr_spill_count: 0
    .symbol:         _ZN9rocsparseL14csr2coo_kernelILj256ELj2EilEEvT2_PKT1_S4_PS1_21rocsparse_index_base_.kd
    .uniform_work_group_size: 1
    .uses_dynamic_stack: false
    .vgpr_count:     10
    .vgpr_spill_count: 0
    .wavefront_size: 64
  - .agpr_count:     0
    .args:
      - .offset:         0
        .size:           8
        .value_kind:     by_value
      - .address_space:  global
        .offset:         8
        .size:           8
        .value_kind:     global_buffer
      - .address_space:  global
        .offset:         16
        .size:           8
        .value_kind:     global_buffer
      - .address_space:  global
        .offset:         24
        .size:           8
        .value_kind:     global_buffer
      - .offset:         32
        .size:           4
        .value_kind:     by_value
    .group_segment_fixed_size: 260
    .kernarg_segment_align: 8
    .kernarg_segment_size: 36
    .language:       OpenCL C
    .language_version:
      - 2
      - 0
    .max_flat_workgroup_size: 256
    .name:           _ZN9rocsparseL14csr2coo_kernelILj256ELj4EilEEvT2_PKT1_S4_PS1_21rocsparse_index_base_
    .private_segment_fixed_size: 0
    .sgpr_count:     28
    .sgpr_spill_count: 0
    .symbol:         _ZN9rocsparseL14csr2coo_kernelILj256ELj4EilEEvT2_PKT1_S4_PS1_21rocsparse_index_base_.kd
    .uniform_work_group_size: 1
    .uses_dynamic_stack: false
    .vgpr_count:     10
    .vgpr_spill_count: 0
    .wavefront_size: 64
  - .agpr_count:     0
    .args:
      - .offset:         0
        .size:           8
        .value_kind:     by_value
      - .address_space:  global
        .offset:         8
        .size:           8
        .value_kind:     global_buffer
      - .address_space:  global
        .offset:         16
        .size:           8
        .value_kind:     global_buffer
      - .address_space:  global
        .offset:         24
        .size:           8
        .value_kind:     global_buffer
      - .offset:         32
        .size:           4
        .value_kind:     by_value
    .group_segment_fixed_size: 132
    .kernarg_segment_align: 8
    .kernarg_segment_size: 36
    .language:       OpenCL C
    .language_version:
      - 2
      - 0
    .max_flat_workgroup_size: 256
    .name:           _ZN9rocsparseL14csr2coo_kernelILj256ELj8EilEEvT2_PKT1_S4_PS1_21rocsparse_index_base_
    .private_segment_fixed_size: 0
    .sgpr_count:     28
    .sgpr_spill_count: 0
    .symbol:         _ZN9rocsparseL14csr2coo_kernelILj256ELj8EilEEvT2_PKT1_S4_PS1_21rocsparse_index_base_.kd
    .uniform_work_group_size: 1
    .uses_dynamic_stack: false
    .vgpr_count:     10
    .vgpr_spill_count: 0
    .wavefront_size: 64
  - .agpr_count:     0
    .args:
      - .offset:         0
        .size:           8
        .value_kind:     by_value
      - .address_space:  global
        .offset:         8
        .size:           8
        .value_kind:     global_buffer
      - .address_space:  global
        .offset:         16
        .size:           8
        .value_kind:     global_buffer
      - .address_space:  global
        .offset:         24
        .size:           8
        .value_kind:     global_buffer
      - .offset:         32
        .size:           4
        .value_kind:     by_value
    .group_segment_fixed_size: 68
    .kernarg_segment_align: 8
    .kernarg_segment_size: 36
    .language:       OpenCL C
    .language_version:
      - 2
      - 0
    .max_flat_workgroup_size: 256
    .name:           _ZN9rocsparseL14csr2coo_kernelILj256ELj16EilEEvT2_PKT1_S4_PS1_21rocsparse_index_base_
    .private_segment_fixed_size: 0
    .sgpr_count:     26
    .sgpr_spill_count: 0
    .symbol:         _ZN9rocsparseL14csr2coo_kernelILj256ELj16EilEEvT2_PKT1_S4_PS1_21rocsparse_index_base_.kd
    .uniform_work_group_size: 1
    .uses_dynamic_stack: false
    .vgpr_count:     10
    .vgpr_spill_count: 0
    .wavefront_size: 64
  - .agpr_count:     0
    .args:
      - .offset:         0
        .size:           8
        .value_kind:     by_value
      - .address_space:  global
        .offset:         8
        .size:           8
        .value_kind:     global_buffer
      - .address_space:  global
        .offset:         16
        .size:           8
        .value_kind:     global_buffer
      - .address_space:  global
        .offset:         24
        .size:           8
        .value_kind:     global_buffer
      - .offset:         32
        .size:           4
        .value_kind:     by_value
    .group_segment_fixed_size: 36
    .kernarg_segment_align: 8
    .kernarg_segment_size: 36
    .language:       OpenCL C
    .language_version:
      - 2
      - 0
    .max_flat_workgroup_size: 256
    .name:           _ZN9rocsparseL14csr2coo_kernelILj256ELj32EilEEvT2_PKT1_S4_PS1_21rocsparse_index_base_
    .private_segment_fixed_size: 0
    .sgpr_count:     26
    .sgpr_spill_count: 0
    .symbol:         _ZN9rocsparseL14csr2coo_kernelILj256ELj32EilEEvT2_PKT1_S4_PS1_21rocsparse_index_base_.kd
    .uniform_work_group_size: 1
    .uses_dynamic_stack: false
    .vgpr_count:     10
    .vgpr_spill_count: 0
    .wavefront_size: 64
  - .agpr_count:     0
    .args:
      - .offset:         0
        .size:           8
        .value_kind:     by_value
      - .address_space:  global
        .offset:         8
        .size:           8
        .value_kind:     global_buffer
      - .address_space:  global
        .offset:         16
        .size:           8
        .value_kind:     global_buffer
      - .address_space:  global
        .offset:         24
        .size:           8
        .value_kind:     global_buffer
      - .offset:         32
        .size:           4
        .value_kind:     by_value
    .group_segment_fixed_size: 20
    .kernarg_segment_align: 8
    .kernarg_segment_size: 36
    .language:       OpenCL C
    .language_version:
      - 2
      - 0
    .max_flat_workgroup_size: 256
    .name:           _ZN9rocsparseL14csr2coo_kernelILj256ELj64EilEEvT2_PKT1_S4_PS1_21rocsparse_index_base_
    .private_segment_fixed_size: 0
    .sgpr_count:     26
    .sgpr_spill_count: 0
    .symbol:         _ZN9rocsparseL14csr2coo_kernelILj256ELj64EilEEvT2_PKT1_S4_PS1_21rocsparse_index_base_.kd
    .uniform_work_group_size: 1
    .uses_dynamic_stack: false
    .vgpr_count:     10
    .vgpr_spill_count: 0
    .wavefront_size: 64
  - .agpr_count:     0
    .args:
      - .offset:         0
        .size:           8
        .value_kind:     by_value
      - .address_space:  global
        .offset:         8
        .size:           8
        .value_kind:     global_buffer
      - .address_space:  global
        .offset:         16
        .size:           8
        .value_kind:     global_buffer
      - .address_space:  global
        .offset:         24
        .size:           8
        .value_kind:     global_buffer
      - .offset:         32
        .size:           4
        .value_kind:     by_value
    .group_segment_fixed_size: 12
    .kernarg_segment_align: 8
    .kernarg_segment_size: 36
    .language:       OpenCL C
    .language_version:
      - 2
      - 0
    .max_flat_workgroup_size: 256
    .name:           _ZN9rocsparseL14csr2coo_kernelILj256ELj128EilEEvT2_PKT1_S4_PS1_21rocsparse_index_base_
    .private_segment_fixed_size: 0
    .sgpr_count:     26
    .sgpr_spill_count: 0
    .symbol:         _ZN9rocsparseL14csr2coo_kernelILj256ELj128EilEEvT2_PKT1_S4_PS1_21rocsparse_index_base_.kd
    .uniform_work_group_size: 1
    .uses_dynamic_stack: false
    .vgpr_count:     10
    .vgpr_spill_count: 0
    .wavefront_size: 64
  - .agpr_count:     0
    .args:
      - .offset:         0
        .size:           8
        .value_kind:     by_value
      - .address_space:  global
        .offset:         8
        .size:           8
        .value_kind:     global_buffer
      - .address_space:  global
        .offset:         16
        .size:           8
        .value_kind:     global_buffer
      - .address_space:  global
        .offset:         24
        .size:           8
        .value_kind:     global_buffer
      - .offset:         32
        .size:           4
        .value_kind:     by_value
    .group_segment_fixed_size: 8
    .kernarg_segment_align: 8
    .kernarg_segment_size: 36
    .language:       OpenCL C
    .language_version:
      - 2
      - 0
    .max_flat_workgroup_size: 256
    .name:           _ZN9rocsparseL14csr2coo_kernelILj256ELj256EilEEvT2_PKT1_S4_PS1_21rocsparse_index_base_
    .private_segment_fixed_size: 0
    .sgpr_count:     26
    .sgpr_spill_count: 0
    .symbol:         _ZN9rocsparseL14csr2coo_kernelILj256ELj256EilEEvT2_PKT1_S4_PS1_21rocsparse_index_base_.kd
    .uniform_work_group_size: 1
    .uses_dynamic_stack: false
    .vgpr_count:     8
    .vgpr_spill_count: 0
    .wavefront_size: 64
  - .agpr_count:     0
    .args:
      - .offset:         0
        .size:           8
        .value_kind:     by_value
      - .address_space:  global
        .offset:         8
        .size:           8
        .value_kind:     global_buffer
      - .address_space:  global
        .offset:         16
        .size:           8
        .value_kind:     global_buffer
      - .address_space:  global
        .offset:         24
        .size:           8
        .value_kind:     global_buffer
      - .offset:         32
        .size:           4
        .value_kind:     by_value
    .group_segment_fixed_size: 516
    .kernarg_segment_align: 8
    .kernarg_segment_size: 36
    .language:       OpenCL C
    .language_version:
      - 2
      - 0
    .max_flat_workgroup_size: 256
    .name:           _ZN9rocsparseL14csr2coo_kernelILj256ELj2EllEEvT2_PKT1_S4_PS1_21rocsparse_index_base_
    .private_segment_fixed_size: 0
    .sgpr_count:     32
    .sgpr_spill_count: 0
    .symbol:         _ZN9rocsparseL14csr2coo_kernelILj256ELj2EllEEvT2_PKT1_S4_PS1_21rocsparse_index_base_.kd
    .uniform_work_group_size: 1
    .uses_dynamic_stack: false
    .vgpr_count:     12
    .vgpr_spill_count: 0
    .wavefront_size: 64
  - .agpr_count:     0
    .args:
      - .offset:         0
        .size:           8
        .value_kind:     by_value
      - .address_space:  global
        .offset:         8
        .size:           8
        .value_kind:     global_buffer
      - .address_space:  global
        .offset:         16
        .size:           8
        .value_kind:     global_buffer
      - .address_space:  global
        .offset:         24
        .size:           8
        .value_kind:     global_buffer
      - .offset:         32
        .size:           4
        .value_kind:     by_value
    .group_segment_fixed_size: 260
    .kernarg_segment_align: 8
    .kernarg_segment_size: 36
    .language:       OpenCL C
    .language_version:
      - 2
      - 0
    .max_flat_workgroup_size: 256
    .name:           _ZN9rocsparseL14csr2coo_kernelILj256ELj4EllEEvT2_PKT1_S4_PS1_21rocsparse_index_base_
    .private_segment_fixed_size: 0
    .sgpr_count:     32
    .sgpr_spill_count: 0
    .symbol:         _ZN9rocsparseL14csr2coo_kernelILj256ELj4EllEEvT2_PKT1_S4_PS1_21rocsparse_index_base_.kd
    .uniform_work_group_size: 1
    .uses_dynamic_stack: false
    .vgpr_count:     12
    .vgpr_spill_count: 0
    .wavefront_size: 64
  - .agpr_count:     0
    .args:
      - .offset:         0
        .size:           8
        .value_kind:     by_value
      - .address_space:  global
        .offset:         8
        .size:           8
        .value_kind:     global_buffer
      - .address_space:  global
        .offset:         16
        .size:           8
        .value_kind:     global_buffer
      - .address_space:  global
        .offset:         24
        .size:           8
        .value_kind:     global_buffer
      - .offset:         32
        .size:           4
        .value_kind:     by_value
    .group_segment_fixed_size: 132
    .kernarg_segment_align: 8
    .kernarg_segment_size: 36
    .language:       OpenCL C
    .language_version:
      - 2
      - 0
    .max_flat_workgroup_size: 256
    .name:           _ZN9rocsparseL14csr2coo_kernelILj256ELj8EllEEvT2_PKT1_S4_PS1_21rocsparse_index_base_
    .private_segment_fixed_size: 0
    .sgpr_count:     32
    .sgpr_spill_count: 0
    .symbol:         _ZN9rocsparseL14csr2coo_kernelILj256ELj8EllEEvT2_PKT1_S4_PS1_21rocsparse_index_base_.kd
    .uniform_work_group_size: 1
    .uses_dynamic_stack: false
    .vgpr_count:     12
    .vgpr_spill_count: 0
    .wavefront_size: 64
  - .agpr_count:     0
    .args:
      - .offset:         0
        .size:           8
        .value_kind:     by_value
      - .address_space:  global
        .offset:         8
        .size:           8
        .value_kind:     global_buffer
      - .address_space:  global
        .offset:         16
        .size:           8
        .value_kind:     global_buffer
      - .address_space:  global
        .offset:         24
        .size:           8
        .value_kind:     global_buffer
      - .offset:         32
        .size:           4
        .value_kind:     by_value
    .group_segment_fixed_size: 68
    .kernarg_segment_align: 8
    .kernarg_segment_size: 36
    .language:       OpenCL C
    .language_version:
      - 2
      - 0
    .max_flat_workgroup_size: 256
    .name:           _ZN9rocsparseL14csr2coo_kernelILj256ELj16EllEEvT2_PKT1_S4_PS1_21rocsparse_index_base_
    .private_segment_fixed_size: 0
    .sgpr_count:     28
    .sgpr_spill_count: 0
    .symbol:         _ZN9rocsparseL14csr2coo_kernelILj256ELj16EllEEvT2_PKT1_S4_PS1_21rocsparse_index_base_.kd
    .uniform_work_group_size: 1
    .uses_dynamic_stack: false
    .vgpr_count:     12
    .vgpr_spill_count: 0
    .wavefront_size: 64
  - .agpr_count:     0
    .args:
      - .offset:         0
        .size:           8
        .value_kind:     by_value
      - .address_space:  global
        .offset:         8
        .size:           8
        .value_kind:     global_buffer
      - .address_space:  global
        .offset:         16
        .size:           8
        .value_kind:     global_buffer
      - .address_space:  global
        .offset:         24
        .size:           8
        .value_kind:     global_buffer
      - .offset:         32
        .size:           4
        .value_kind:     by_value
    .group_segment_fixed_size: 36
    .kernarg_segment_align: 8
    .kernarg_segment_size: 36
    .language:       OpenCL C
    .language_version:
      - 2
      - 0
    .max_flat_workgroup_size: 256
    .name:           _ZN9rocsparseL14csr2coo_kernelILj256ELj32EllEEvT2_PKT1_S4_PS1_21rocsparse_index_base_
    .private_segment_fixed_size: 0
    .sgpr_count:     28
    .sgpr_spill_count: 0
    .symbol:         _ZN9rocsparseL14csr2coo_kernelILj256ELj32EllEEvT2_PKT1_S4_PS1_21rocsparse_index_base_.kd
    .uniform_work_group_size: 1
    .uses_dynamic_stack: false
    .vgpr_count:     12
    .vgpr_spill_count: 0
    .wavefront_size: 64
  - .agpr_count:     0
    .args:
      - .offset:         0
        .size:           8
        .value_kind:     by_value
      - .address_space:  global
        .offset:         8
        .size:           8
        .value_kind:     global_buffer
      - .address_space:  global
        .offset:         16
        .size:           8
        .value_kind:     global_buffer
      - .address_space:  global
        .offset:         24
        .size:           8
        .value_kind:     global_buffer
      - .offset:         32
        .size:           4
        .value_kind:     by_value
    .group_segment_fixed_size: 20
    .kernarg_segment_align: 8
    .kernarg_segment_size: 36
    .language:       OpenCL C
    .language_version:
      - 2
      - 0
    .max_flat_workgroup_size: 256
    .name:           _ZN9rocsparseL14csr2coo_kernelILj256ELj64EllEEvT2_PKT1_S4_PS1_21rocsparse_index_base_
    .private_segment_fixed_size: 0
    .sgpr_count:     28
    .sgpr_spill_count: 0
    .symbol:         _ZN9rocsparseL14csr2coo_kernelILj256ELj64EllEEvT2_PKT1_S4_PS1_21rocsparse_index_base_.kd
    .uniform_work_group_size: 1
    .uses_dynamic_stack: false
    .vgpr_count:     12
    .vgpr_spill_count: 0
    .wavefront_size: 64
  - .agpr_count:     0
    .args:
      - .offset:         0
        .size:           8
        .value_kind:     by_value
      - .address_space:  global
        .offset:         8
        .size:           8
        .value_kind:     global_buffer
      - .address_space:  global
        .offset:         16
        .size:           8
        .value_kind:     global_buffer
      - .address_space:  global
        .offset:         24
        .size:           8
        .value_kind:     global_buffer
      - .offset:         32
        .size:           4
        .value_kind:     by_value
    .group_segment_fixed_size: 12
    .kernarg_segment_align: 8
    .kernarg_segment_size: 36
    .language:       OpenCL C
    .language_version:
      - 2
      - 0
    .max_flat_workgroup_size: 256
    .name:           _ZN9rocsparseL14csr2coo_kernelILj256ELj128EllEEvT2_PKT1_S4_PS1_21rocsparse_index_base_
    .private_segment_fixed_size: 0
    .sgpr_count:     30
    .sgpr_spill_count: 0
    .symbol:         _ZN9rocsparseL14csr2coo_kernelILj256ELj128EllEEvT2_PKT1_S4_PS1_21rocsparse_index_base_.kd
    .uniform_work_group_size: 1
    .uses_dynamic_stack: false
    .vgpr_count:     10
    .vgpr_spill_count: 0
    .wavefront_size: 64
  - .agpr_count:     0
    .args:
      - .offset:         0
        .size:           8
        .value_kind:     by_value
      - .address_space:  global
        .offset:         8
        .size:           8
        .value_kind:     global_buffer
      - .address_space:  global
        .offset:         16
        .size:           8
        .value_kind:     global_buffer
      - .address_space:  global
        .offset:         24
        .size:           8
        .value_kind:     global_buffer
      - .offset:         32
        .size:           4
        .value_kind:     by_value
    .group_segment_fixed_size: 8
    .kernarg_segment_align: 8
    .kernarg_segment_size: 36
    .language:       OpenCL C
    .language_version:
      - 2
      - 0
    .max_flat_workgroup_size: 256
    .name:           _ZN9rocsparseL14csr2coo_kernelILj256ELj256EllEEvT2_PKT1_S4_PS1_21rocsparse_index_base_
    .private_segment_fixed_size: 0
    .sgpr_count:     30
    .sgpr_spill_count: 0
    .symbol:         _ZN9rocsparseL14csr2coo_kernelILj256ELj256EllEEvT2_PKT1_S4_PS1_21rocsparse_index_base_.kd
    .uniform_work_group_size: 1
    .uses_dynamic_stack: false
    .vgpr_count:     10
    .vgpr_spill_count: 0
    .wavefront_size: 64
amdhsa.target:   amdgcn-amd-amdhsa--gfx950
amdhsa.version:
  - 1
  - 2
...

	.end_amdgpu_metadata
